;; amdgpu-corpus repo=ROCm/rocFFT kind=compiled arch=gfx906 opt=O3
	.text
	.amdgcn_target "amdgcn-amd-amdhsa--gfx906"
	.amdhsa_code_object_version 6
	.protected	bluestein_single_back_len884_dim1_sp_op_CI_CI ; -- Begin function bluestein_single_back_len884_dim1_sp_op_CI_CI
	.globl	bluestein_single_back_len884_dim1_sp_op_CI_CI
	.p2align	8
	.type	bluestein_single_back_len884_dim1_sp_op_CI_CI,@function
bluestein_single_back_len884_dim1_sp_op_CI_CI: ; @bluestein_single_back_len884_dim1_sp_op_CI_CI
; %bb.0:
	v_mul_u32_u24_e32 v1, 0x3c4, v0
	s_mov_b64 s[26:27], s[2:3]
	s_load_dwordx4 s[8:11], s[4:5], 0x28
	v_lshrrev_b32_e32 v1, 16, v1
	s_mov_b64 s[24:25], s[0:1]
	v_mad_u64_u32 v[80:81], s[0:1], s6, 3, v[1:2]
	v_mov_b32_e32 v81, 0
	s_add_u32 s24, s24, s7
	s_waitcnt lgkmcnt(0)
	v_cmp_gt_u64_e32 vcc, s[8:9], v[80:81]
	s_addc_u32 s25, s25, 0
	s_and_saveexec_b64 s[0:1], vcc
	s_cbranch_execz .LBB0_18
; %bb.1:
	s_load_dwordx4 s[0:3], s[4:5], 0x18
	s_load_dwordx4 s[12:15], s[4:5], 0x0
	v_mul_lo_u16_e32 v1, 0x44, v1
	v_sub_u16_e32 v223, v0, v1
	v_lshlrev_b32_e32 v30, 3, v223
	s_waitcnt lgkmcnt(0)
	s_load_dwordx4 s[16:19], s[0:1], 0x0
	s_waitcnt lgkmcnt(0)
	v_mad_u64_u32 v[0:1], s[0:1], s18, v80, 0
	v_mad_u64_u32 v[2:3], s[0:1], s16, v223, 0
	s_mul_hi_u32 s6, s16, 0x220
	s_mul_i32 s7, s16, 0x220
	v_mad_u64_u32 v[4:5], s[0:1], s19, v80, v[1:2]
	v_mad_u64_u32 v[5:6], s[0:1], s17, v223, v[3:4]
	v_mov_b32_e32 v1, v4
	v_lshlrev_b64 v[0:1], 3, v[0:1]
	v_mov_b32_e32 v6, s11
	v_mov_b32_e32 v3, v5
	v_add_co_u32_e32 v4, vcc, s10, v0
	v_addc_co_u32_e32 v5, vcc, v6, v1, vcc
	v_lshlrev_b64 v[0:1], 3, v[2:3]
	v_add_co_u32_e32 v0, vcc, v4, v0
	v_addc_co_u32_e32 v1, vcc, v5, v1, vcc
	v_mov_b32_e32 v4, s13
	v_add_co_u32_e32 v120, vcc, s12, v30
	v_addc_co_u32_e64 v21, s[0:1], 0, v4, vcc
	s_mul_i32 s0, s17, 0x220
	s_add_i32 s6, s6, s0
	global_load_dwordx2 v[2:3], v[0:1], off
	v_mov_b32_e32 v4, s6
	v_add_co_u32_e64 v0, s[0:1], s7, v0
	v_addc_co_u32_e64 v1, s[0:1], v1, v4, s[0:1]
	v_mov_b32_e32 v5, s6
	v_add_co_u32_e64 v4, s[0:1], s7, v0
	v_addc_co_u32_e64 v5, s[0:1], v1, v5, s[0:1]
	;; [unrolled: 3-line block ×4, first 2 shown]
	global_load_dwordx2 v[105:106], v30, s[12:13]
	global_load_dwordx2 v[101:102], v30, s[12:13] offset:544
	global_load_dwordx2 v[93:94], v30, s[12:13] offset:1088
	;; [unrolled: 1-line block ×3, first 2 shown]
	global_load_dwordx2 v[10:11], v[0:1], off
	global_load_dwordx2 v[12:13], v[4:5], off
	;; [unrolled: 1-line block ×4, first 2 shown]
	v_mov_b32_e32 v1, s6
	v_add_co_u32_e64 v0, s[0:1], s7, v8
	v_addc_co_u32_e64 v1, s[0:1], v9, v1, s[0:1]
	global_load_dwordx2 v[4:5], v[0:1], off
	v_mov_b32_e32 v6, s6
	v_add_co_u32_e64 v0, s[0:1], s7, v0
	v_addc_co_u32_e64 v1, s[0:1], v1, v6, s[0:1]
	global_load_dwordx2 v[6:7], v[0:1], off
	;; [unrolled: 4-line block ×3, first 2 shown]
	global_load_dwordx2 v[103:104], v30, s[12:13] offset:2176
	global_load_dwordx2 v[99:100], v30, s[12:13] offset:2720
	;; [unrolled: 1-line block ×4, first 2 shown]
	v_mov_b32_e32 v18, s6
	v_add_co_u32_e64 v0, s[0:1], s7, v0
	v_addc_co_u32_e64 v1, s[0:1], v1, v18, s[0:1]
	s_movk_i32 s0, 0x1000
	v_add_co_u32_e64 v20, s[0:1], s0, v120
	v_addc_co_u32_e64 v21, s[0:1], 0, v21, s[0:1]
	global_load_dwordx2 v[18:19], v[0:1], off
	v_mov_b32_e32 v22, s6
	v_add_co_u32_e64 v0, s[0:1], s7, v0
	v_addc_co_u32_e64 v1, s[0:1], v1, v22, s[0:1]
	global_load_dwordx2 v[22:23], v[0:1], off
	global_load_dwordx2 v[97:98], v[20:21], off offset:256
	global_load_dwordx2 v[85:86], v[20:21], off offset:800
	v_mov_b32_e32 v24, s6
	v_add_co_u32_e64 v0, s[0:1], s7, v0
	v_addc_co_u32_e64 v1, s[0:1], v1, v24, s[0:1]
	global_load_dwordx2 v[24:25], v[0:1], off
	v_mov_b32_e32 v26, s6
	v_add_co_u32_e64 v0, s[0:1], s7, v0
	v_addc_co_u32_e64 v1, s[0:1], v1, v26, s[0:1]
	global_load_dwordx2 v[91:92], v[20:21], off offset:1344
	global_load_dwordx2 v[26:27], v[0:1], off
	global_load_dwordx2 v[81:82], v[20:21], off offset:1888
	v_mov_b32_e32 v28, s6
	v_add_co_u32_e64 v0, s[0:1], s7, v0
	v_addc_co_u32_e64 v1, s[0:1], v1, v28, s[0:1]
	global_load_dwordx2 v[28:29], v[0:1], off
	global_load_dwordx2 v[83:84], v[20:21], off offset:2432
	s_mov_b32 s0, 0xaaaaaaab
	v_mul_hi_u32 v0, v80, s0
	s_load_dwordx2 s[6:7], s[4:5], 0x38
	s_load_dwordx4 s[8:11], s[2:3], 0x0
	s_mov_b32 s2, 0x3f62ad3f
	s_mov_b32 s1, 0x3f116cb1
	v_lshrrev_b32_e32 v0, 1, v0
	v_lshl_add_u32 v0, v0, 1, v0
	v_sub_u32_e32 v0, v80, v0
	v_mul_u32_u24_e32 v1, 0x374, v0
	v_lshlrev_b32_e32 v159, 3, v1
	v_add_u32_e32 v118, v30, v159
	s_mov_b32 s0, 0x3df6dbef
	s_mov_b32 s3, 0xbeb58ec6
	;; [unrolled: 1-line block ×4, first 2 shown]
	s_waitcnt vmcnt(24)
	v_mul_f32_e32 v0, v3, v106
	v_mul_f32_e32 v1, v2, v106
	v_fmac_f32_e32 v0, v2, v105
	v_fma_f32 v1, v3, v105, -v1
	s_waitcnt vmcnt(20)
	v_mul_f32_e32 v2, v11, v102
	v_mul_f32_e32 v3, v10, v102
	v_fmac_f32_e32 v2, v10, v101
	v_fma_f32 v3, v11, v101, -v3
	ds_write2_b64 v118, v[0:1], v[2:3] offset1:68
	s_waitcnt vmcnt(19)
	v_mul_f32_e32 v0, v13, v94
	v_mul_f32_e32 v1, v12, v94
	s_waitcnt vmcnt(18)
	v_mul_f32_e32 v2, v15, v90
	v_mul_f32_e32 v3, v14, v90
	v_fmac_f32_e32 v0, v12, v93
	v_fma_f32 v1, v13, v93, -v1
	v_fmac_f32_e32 v2, v14, v89
	v_fma_f32 v3, v15, v89, -v3
	ds_write2_b64 v118, v[0:1], v[2:3] offset0:136 offset1:204
	s_waitcnt vmcnt(13)
	v_mul_f32_e32 v0, v17, v104
	v_mul_f32_e32 v1, v16, v104
	s_waitcnt vmcnt(12)
	v_mul_f32_e32 v2, v5, v100
	v_mul_f32_e32 v3, v4, v100
	v_fmac_f32_e32 v0, v16, v103
	v_fma_f32 v1, v17, v103, -v1
	v_fmac_f32_e32 v2, v4, v99
	v_fma_f32 v3, v5, v99, -v3
	v_add_u32_e32 v16, 0x800, v118
	ds_write2_b64 v16, v[0:1], v[2:3] offset0:16 offset1:84
	s_waitcnt vmcnt(11)
	v_mul_f32_e32 v0, v7, v96
	v_mul_f32_e32 v1, v6, v96
	s_waitcnt vmcnt(10)
	v_mul_f32_e32 v2, v9, v88
	v_mul_f32_e32 v3, v8, v88
	v_fmac_f32_e32 v0, v6, v95
	v_fma_f32 v1, v7, v95, -v1
	v_fmac_f32_e32 v2, v8, v87
	v_fma_f32 v3, v9, v87, -v3
	ds_write2_b64 v16, v[0:1], v[2:3] offset0:152 offset1:220
	s_waitcnt vmcnt(7)
	v_mul_f32_e32 v0, v19, v98
	v_mul_f32_e32 v1, v18, v98
	s_waitcnt vmcnt(6)
	v_mul_f32_e32 v2, v23, v86
	v_mul_f32_e32 v3, v22, v86
	v_fmac_f32_e32 v0, v18, v97
	v_fma_f32 v1, v19, v97, -v1
	v_fmac_f32_e32 v2, v22, v85
	v_fma_f32 v3, v23, v85, -v3
	v_add_u32_e32 v17, 0x1000, v118
	ds_write2_b64 v17, v[0:1], v[2:3] offset0:32 offset1:100
	s_waitcnt vmcnt(4)
	v_mul_f32_e32 v0, v25, v92
	v_mul_f32_e32 v1, v24, v92
	s_waitcnt vmcnt(2)
	v_mul_f32_e32 v2, v27, v82
	v_mul_f32_e32 v3, v26, v82
	v_fmac_f32_e32 v0, v24, v91
	v_fma_f32 v1, v25, v91, -v1
	v_fmac_f32_e32 v2, v26, v81
	v_fma_f32 v3, v27, v81, -v3
	ds_write2_b64 v17, v[0:1], v[2:3] offset0:168 offset1:236
	s_waitcnt vmcnt(0)
	v_mul_f32_e32 v0, v29, v84
	v_mul_f32_e32 v1, v28, v84
	v_fmac_f32_e32 v0, v28, v83
	v_fma_f32 v1, v29, v83, -v1
	ds_write_b64 v118, v[0:1] offset:6528
	s_waitcnt lgkmcnt(0)
	s_barrier
	ds_read2_b64 v[18:21], v118 offset1:68
	ds_read2_b64 v[22:25], v118 offset0:136 offset1:204
	ds_read2_b64 v[4:7], v16 offset0:16 offset1:84
	;; [unrolled: 1-line block ×5, first 2 shown]
	ds_read_b64 v[14:15], v118 offset:6528
	s_waitcnt lgkmcnt(6)
	v_add_f32_e32 v12, v18, v20
	s_waitcnt lgkmcnt(5)
	v_add_f32_e32 v12, v12, v22
	v_add_f32_e32 v13, v19, v21
	v_add_f32_e32 v12, v12, v24
	v_add_f32_e32 v13, v13, v23
	s_waitcnt lgkmcnt(4)
	v_add_f32_e32 v12, v12, v4
	v_add_f32_e32 v13, v13, v25
	v_add_f32_e32 v12, v12, v6
	v_add_f32_e32 v13, v13, v5
	s_waitcnt lgkmcnt(3)
	v_add_f32_e32 v12, v12, v0
	v_add_f32_e32 v13, v13, v7
	v_add_f32_e32 v12, v12, v2
	v_add_f32_e32 v13, v13, v1
	s_waitcnt lgkmcnt(2)
	v_add_f32_e32 v12, v12, v8
	v_add_f32_e32 v13, v13, v3
	v_add_f32_e32 v12, v12, v10
	v_add_f32_e32 v13, v13, v9
	s_waitcnt lgkmcnt(1)
	v_add_f32_e32 v12, v12, v26
	v_add_f32_e32 v13, v13, v11
	v_add_f32_e32 v12, v12, v28
	v_add_f32_e32 v13, v13, v27
	s_waitcnt lgkmcnt(0)
	v_add_f32_e32 v12, v12, v14
	v_add_f32_e32 v30, v14, v20
	v_sub_f32_e32 v14, v20, v14
	v_add_f32_e32 v13, v13, v29
	v_mul_f32_e32 v32, 0xbeedf032, v14
	v_mul_f32_e32 v36, 0xbf52af12, v14
	;; [unrolled: 1-line block ×6, first 2 shown]
	v_add_f32_e32 v13, v13, v15
	v_add_f32_e32 v31, v15, v21
	v_sub_f32_e32 v15, v21, v15
	v_mov_b32_e32 v33, v32
	v_mov_b32_e32 v37, v36
	;; [unrolled: 1-line block ×6, first 2 shown]
	v_mul_f32_e32 v20, 0xbeedf032, v15
	v_fmac_f32_e32 v33, 0x3f62ad3f, v31
	v_fma_f32 v32, v31, s2, -v32
	v_mul_f32_e32 v34, 0xbf52af12, v15
	v_fmac_f32_e32 v37, 0x3f116cb1, v31
	v_fma_f32 v36, v31, s1, -v36
	;; [unrolled: 3-line block ×6, first 2 shown]
	v_fma_f32 v21, v30, s2, -v20
	v_add_f32_e32 v33, v19, v33
	v_fmac_f32_e32 v20, 0x3f62ad3f, v30
	v_add_f32_e32 v32, v19, v32
	v_fma_f32 v35, v30, s1, -v34
	v_add_f32_e32 v37, v19, v37
	v_fmac_f32_e32 v34, 0x3f116cb1, v30
	v_add_f32_e32 v36, v19, v36
	;; [unrolled: 4-line block ×6, first 2 shown]
	v_add_f32_e32 v19, v29, v23
	v_sub_f32_e32 v23, v23, v29
	v_add_f32_e32 v21, v18, v21
	v_add_f32_e32 v20, v18, v20
	;; [unrolled: 1-line block ×13, first 2 shown]
	v_sub_f32_e32 v22, v22, v28
	v_mul_f32_e32 v28, 0xbf52af12, v23
	v_fma_f32 v29, v18, s1, -v28
	v_add_f32_e32 v21, v29, v21
	v_mul_f32_e32 v29, 0xbf52af12, v22
	v_fmac_f32_e32 v28, 0x3f116cb1, v18
	v_mov_b32_e32 v30, v29
	v_add_f32_e32 v20, v28, v20
	v_fma_f32 v28, v19, s1, -v29
	v_mul_f32_e32 v29, 0xbf6f5d39, v23
	v_fma_f32 v31, v18, s3, -v29
	v_fmac_f32_e32 v29, 0xbeb58ec6, v18
	v_fmac_f32_e32 v30, 0x3f116cb1, v19
	v_add_f32_e32 v28, v28, v32
	v_mul_f32_e32 v32, 0xbf6f5d39, v22
	v_add_f32_e32 v29, v29, v34
	v_mul_f32_e32 v34, 0xbe750f2a, v23
	v_add_f32_e32 v30, v30, v33
	v_add_f32_e32 v31, v31, v35
	v_mov_b32_e32 v33, v32
	v_fma_f32 v32, v19, s3, -v32
	v_fma_f32 v35, v18, s5, -v34
	v_fmac_f32_e32 v34, 0xbf788fa5, v18
	v_fmac_f32_e32 v33, 0xbeb58ec6, v19
	v_add_f32_e32 v32, v32, v36
	v_mul_f32_e32 v36, 0xbe750f2a, v22
	v_add_f32_e32 v34, v34, v38
	v_mul_f32_e32 v38, 0x3f29c268, v23
	v_add_f32_e32 v33, v33, v37
	v_add_f32_e32 v35, v35, v39
	v_mov_b32_e32 v37, v36
	v_fma_f32 v36, v19, s5, -v36
	v_fma_f32 v39, v18, s4, -v38
	v_fmac_f32_e32 v38, 0xbf3f9e67, v18
	v_fmac_f32_e32 v37, 0xbf788fa5, v19
	v_add_f32_e32 v36, v36, v40
	v_mul_f32_e32 v40, 0x3f29c268, v22
	v_add_f32_e32 v38, v38, v42
	v_mul_f32_e32 v42, 0x3f7e222b, v23
	v_add_f32_e32 v37, v37, v41
	v_add_f32_e32 v39, v39, v43
	v_mov_b32_e32 v41, v40
	v_fma_f32 v40, v19, s4, -v40
	v_fma_f32 v43, v18, s0, -v42
	v_fmac_f32_e32 v42, 0x3df6dbef, v18
	v_mul_f32_e32 v23, 0x3eedf032, v23
	v_add_f32_e32 v40, v40, v44
	v_mul_f32_e32 v44, 0x3f7e222b, v22
	v_add_f32_e32 v42, v42, v46
	v_fma_f32 v46, v18, s2, -v23
	v_mul_f32_e32 v22, 0x3eedf032, v22
	v_fmac_f32_e32 v23, 0x3f62ad3f, v18
	v_fmac_f32_e32 v41, 0xbf3f9e67, v19
	v_add_f32_e32 v15, v23, v15
	v_fma_f32 v18, v19, s2, -v22
	v_sub_f32_e32 v23, v25, v27
	v_add_f32_e32 v41, v41, v45
	v_add_f32_e32 v43, v43, v47
	v_mov_b32_e32 v45, v44
	v_mov_b32_e32 v47, v22
	v_add_f32_e32 v14, v18, v14
	v_add_f32_e32 v18, v26, v24
	v_sub_f32_e32 v22, v24, v26
	v_mul_f32_e32 v24, 0xbf7e222b, v23
	v_fmac_f32_e32 v45, 0x3df6dbef, v19
	v_fma_f32 v44, v19, s0, -v44
	v_fmac_f32_e32 v47, 0x3f62ad3f, v19
	v_add_f32_e32 v19, v27, v25
	v_fma_f32 v25, v18, s0, -v24
	v_add_f32_e32 v21, v25, v21
	v_mul_f32_e32 v25, 0xbf7e222b, v22
	v_fmac_f32_e32 v24, 0x3df6dbef, v18
	v_mov_b32_e32 v26, v25
	v_add_f32_e32 v20, v24, v20
	v_fma_f32 v24, v19, s0, -v25
	v_mul_f32_e32 v25, 0xbe750f2a, v23
	v_fmac_f32_e32 v26, 0x3df6dbef, v19
	v_add_f32_e32 v24, v24, v28
	v_fma_f32 v27, v18, s5, -v25
	v_mul_f32_e32 v28, 0xbe750f2a, v22
	v_fmac_f32_e32 v25, 0xbf788fa5, v18
	v_add_f32_e32 v26, v26, v30
	v_mov_b32_e32 v30, v28
	v_add_f32_e32 v25, v25, v29
	v_fma_f32 v28, v19, s5, -v28
	v_mul_f32_e32 v29, 0x3f6f5d39, v23
	v_add_f32_e32 v27, v27, v31
	v_fmac_f32_e32 v30, 0xbf788fa5, v19
	v_add_f32_e32 v28, v28, v32
	v_fma_f32 v31, v18, s3, -v29
	v_mul_f32_e32 v32, 0x3f6f5d39, v22
	v_fmac_f32_e32 v29, 0xbeb58ec6, v18
	v_add_f32_e32 v30, v30, v33
	v_mov_b32_e32 v33, v32
	v_add_f32_e32 v29, v29, v34
	v_fma_f32 v32, v19, s3, -v32
	v_mul_f32_e32 v34, 0x3eedf032, v23
	v_add_f32_e32 v31, v31, v35
	;; [unrolled: 11-line block ×3, first 2 shown]
	v_fmac_f32_e32 v37, 0x3f62ad3f, v19
	v_add_f32_e32 v36, v36, v40
	v_fma_f32 v39, v18, s1, -v38
	v_mul_f32_e32 v40, 0xbf52af12, v22
	v_mul_f32_e32 v22, 0xbf29c268, v22
	v_add_f32_e32 v37, v37, v41
	v_add_f32_e32 v39, v39, v43
	v_mov_b32_e32 v41, v40
	v_fmac_f32_e32 v38, 0x3f116cb1, v18
	v_mul_f32_e32 v23, 0xbf29c268, v23
	v_mov_b32_e32 v43, v22
	v_fmac_f32_e32 v41, 0x3f116cb1, v19
	v_add_f32_e32 v38, v38, v42
	v_fma_f32 v40, v19, s1, -v40
	v_fma_f32 v42, v18, s4, -v23
	v_fmac_f32_e32 v43, 0xbf3f9e67, v19
	v_fmac_f32_e32 v23, 0xbf3f9e67, v18
	v_fma_f32 v18, v19, s4, -v22
	v_add_f32_e32 v19, v11, v5
	v_sub_f32_e32 v5, v5, v11
	v_add_f32_e32 v14, v18, v14
	v_add_f32_e32 v18, v10, v4
	v_sub_f32_e32 v4, v4, v10
	v_mul_f32_e32 v10, 0xbf6f5d39, v5
	v_fma_f32 v11, v18, s3, -v10
	v_add_f32_e32 v11, v11, v21
	v_mul_f32_e32 v21, 0xbf6f5d39, v4
	v_fmac_f32_e32 v10, 0xbeb58ec6, v18
	v_mov_b32_e32 v22, v21
	v_add_f32_e32 v10, v10, v20
	v_fma_f32 v20, v19, s3, -v21
	v_mul_f32_e32 v21, 0x3f29c268, v5
	v_add_f32_e32 v15, v23, v15
	v_fma_f32 v23, v18, s4, -v21
	v_fmac_f32_e32 v21, 0xbf3f9e67, v18
	v_fmac_f32_e32 v22, 0xbeb58ec6, v19
	v_add_f32_e32 v20, v20, v24
	v_mul_f32_e32 v24, 0x3f29c268, v4
	v_add_f32_e32 v21, v21, v25
	v_mul_f32_e32 v25, 0x3eedf032, v5
	v_add_f32_e32 v22, v22, v26
	v_add_f32_e32 v23, v23, v27
	v_mov_b32_e32 v26, v24
	v_fma_f32 v24, v19, s4, -v24
	v_fma_f32 v27, v18, s2, -v25
	v_fmac_f32_e32 v25, 0x3f62ad3f, v18
	v_fmac_f32_e32 v26, 0xbf3f9e67, v19
	v_add_f32_e32 v24, v24, v28
	v_mul_f32_e32 v28, 0x3eedf032, v4
	v_add_f32_e32 v25, v25, v29
	v_mul_f32_e32 v29, 0xbf7e222b, v5
	v_add_f32_e32 v26, v26, v30
	v_add_f32_e32 v27, v27, v31
	v_mov_b32_e32 v30, v28
	v_fma_f32 v28, v19, s2, -v28
	;; [unrolled: 11-line block ×3, first 2 shown]
	v_fma_f32 v35, v18, s5, -v34
	v_fmac_f32_e32 v34, 0xbf788fa5, v18
	v_mul_f32_e32 v5, 0x3f52af12, v5
	v_add_f32_e32 v32, v32, v36
	v_mul_f32_e32 v36, 0x3e750f2a, v4
	v_add_f32_e32 v34, v34, v38
	v_fma_f32 v38, v18, s1, -v5
	v_mul_f32_e32 v4, 0x3f52af12, v4
	v_fmac_f32_e32 v5, 0x3f116cb1, v18
	v_add_f32_e32 v35, v35, v39
	v_mov_b32_e32 v39, v4
	v_add_f32_e32 v5, v5, v15
	v_fma_f32 v4, v19, s1, -v4
	v_add_f32_e32 v15, v9, v7
	v_sub_f32_e32 v7, v7, v9
	v_add_f32_e32 v4, v4, v14
	v_add_f32_e32 v14, v8, v6
	v_sub_f32_e32 v6, v6, v8
	v_mul_f32_e32 v8, 0xbf29c268, v7
	v_fma_f32 v9, v14, s4, -v8
	v_fmac_f32_e32 v33, 0x3df6dbef, v19
	v_add_f32_e32 v9, v9, v11
	v_mul_f32_e32 v11, 0xbf29c268, v6
	v_fmac_f32_e32 v8, 0xbf3f9e67, v14
	v_add_f32_e32 v33, v33, v37
	v_mov_b32_e32 v37, v36
	v_mov_b32_e32 v18, v11
	v_add_f32_e32 v8, v8, v10
	v_fma_f32 v10, v15, s4, -v11
	v_mul_f32_e32 v11, 0x3f7e222b, v7
	v_fmac_f32_e32 v37, 0xbf788fa5, v19
	v_fma_f32 v36, v19, s5, -v36
	v_fmac_f32_e32 v39, 0x3f116cb1, v19
	v_fmac_f32_e32 v18, 0xbf3f9e67, v15
	v_add_f32_e32 v10, v10, v20
	v_fma_f32 v19, v14, s0, -v11
	v_mul_f32_e32 v20, 0x3f7e222b, v6
	v_fmac_f32_e32 v11, 0x3df6dbef, v14
	v_add_f32_e32 v18, v18, v22
	v_mov_b32_e32 v22, v20
	v_add_f32_e32 v11, v11, v21
	v_fma_f32 v20, v15, s0, -v20
	v_mul_f32_e32 v21, 0xbf52af12, v7
	v_add_f32_e32 v19, v19, v23
	v_fmac_f32_e32 v22, 0x3df6dbef, v15
	v_add_f32_e32 v20, v20, v24
	v_fma_f32 v23, v14, s1, -v21
	v_mul_f32_e32 v24, 0xbf52af12, v6
	v_fmac_f32_e32 v21, 0x3f116cb1, v14
	v_add_f32_e32 v22, v22, v26
	v_mov_b32_e32 v26, v24
	v_add_f32_e32 v21, v21, v25
	v_fma_f32 v24, v15, s1, -v24
	v_mul_f32_e32 v25, 0x3e750f2a, v7
	v_add_f32_e32 v23, v23, v27
	v_fmac_f32_e32 v26, 0x3f116cb1, v15
	v_add_f32_e32 v24, v24, v28
	v_fma_f32 v27, v14, s5, -v25
	v_mul_f32_e32 v28, 0x3e750f2a, v6
	v_fmac_f32_e32 v25, 0xbf788fa5, v14
	v_add_f32_e32 v45, v45, v49
	v_add_f32_e32 v46, v46, v50
	;; [unrolled: 1-line block ×3, first 2 shown]
	v_mov_b32_e32 v30, v28
	v_add_f32_e32 v25, v25, v29
	v_fma_f32 v28, v15, s5, -v28
	v_mul_f32_e32 v29, 0x3eedf032, v7
	v_add_f32_e32 v44, v44, v48
	v_add_f32_e32 v47, v47, v51
	;; [unrolled: 1-line block ×6, first 2 shown]
	v_fma_f32 v31, v14, s2, -v29
	v_mul_f32_e32 v32, 0x3eedf032, v6
	v_fmac_f32_e32 v29, 0x3f62ad3f, v14
	v_mul_f32_e32 v7, 0xbf6f5d39, v7
	v_mul_f32_e32 v6, 0xbf6f5d39, v6
	v_add_f32_e32 v40, v40, v44
	v_add_f32_e32 v43, v43, v47
	;; [unrolled: 1-line block ×6, first 2 shown]
	v_fma_f32 v34, v14, s3, -v7
	v_mov_b32_e32 v35, v6
	v_sub_f32_e32 v41, v1, v3
	v_add_f32_e32 v36, v36, v40
	v_add_f32_e32 v39, v39, v43
	;; [unrolled: 1-line block ×3, first 2 shown]
	v_fmac_f32_e32 v35, 0xbeb58ec6, v15
	v_add_f32_e32 v38, v2, v0
	v_sub_f32_e32 v40, v0, v2
	v_mul_f32_e32 v0, 0xbe750f2a, v41
	v_fmac_f32_e32 v30, 0xbf788fa5, v15
	v_add_f32_e32 v35, v35, v39
	v_add_f32_e32 v39, v3, v1
	v_fma_f32 v1, v38, s5, -v0
	v_add_f32_e32 v30, v30, v33
	v_mov_b32_e32 v33, v32
	v_fma_f32 v32, v15, s2, -v32
	v_fmac_f32_e32 v7, 0xbeb58ec6, v14
	v_add_f32_e32 v2, v1, v9
	v_mul_f32_e32 v1, 0xbe750f2a, v40
	v_fmac_f32_e32 v33, 0x3f62ad3f, v15
	v_add_f32_e32 v32, v32, v36
	v_add_f32_e32 v36, v7, v5
	v_fma_f32 v5, v15, s3, -v6
	v_mov_b32_e32 v3, v1
	v_mul_f32_e32 v6, 0x3eedf032, v41
	v_add_f32_e32 v33, v33, v37
	v_add_f32_e32 v37, v5, v4
	v_fmac_f32_e32 v3, 0xbf788fa5, v39
	v_fma_f32 v4, v38, s2, -v6
	v_fmac_f32_e32 v6, 0x3f62ad3f, v38
	v_add_f32_e32 v3, v3, v18
	v_fma_f32 v1, v39, s5, -v1
	v_add_f32_e32 v6, v6, v11
	v_mul_f32_e32 v11, 0xbf29c268, v40
	v_mul_f32_e32 v18, 0x3f52af12, v41
	v_fmac_f32_e32 v0, 0xbf788fa5, v38
	v_add_f32_e32 v1, v1, v10
	v_mul_f32_e32 v7, 0x3eedf032, v40
	v_mul_f32_e32 v10, 0xbf29c268, v41
	v_mov_b32_e32 v9, v11
	v_fma_f32 v14, v38, s1, -v18
	v_add_f32_e32 v0, v0, v8
	v_add_f32_e32 v4, v4, v19
	v_mov_b32_e32 v5, v7
	v_fma_f32 v8, v38, s4, -v10
	v_fmac_f32_e32 v9, 0xbf3f9e67, v39
	v_add_f32_e32 v14, v14, v27
	v_mul_f32_e32 v19, 0x3f52af12, v40
	v_fmac_f32_e32 v18, 0x3f116cb1, v38
	v_mul_f32_e32 v27, 0x3f7e222b, v40
	v_fmac_f32_e32 v5, 0x3f62ad3f, v39
	v_add_f32_e32 v8, v8, v23
	v_add_f32_e32 v9, v9, v26
	v_fmac_f32_e32 v10, 0xbf3f9e67, v38
	v_fma_f32 v11, v39, s4, -v11
	v_mov_b32_e32 v15, v19
	v_add_f32_e32 v18, v18, v25
	v_fma_f32 v19, v39, s1, -v19
	v_mul_f32_e32 v23, 0xbf6f5d39, v40
	v_mul_f32_e32 v26, 0x3f7e222b, v41
	v_mov_b32_e32 v25, v27
	v_add_f32_e32 v5, v5, v22
	v_fma_f32 v7, v39, s2, -v7
	v_add_f32_e32 v10, v10, v21
	v_add_f32_e32 v11, v11, v24
	v_fmac_f32_e32 v15, 0x3f116cb1, v39
	v_add_f32_e32 v19, v19, v28
	v_mul_f32_e32 v22, 0xbf6f5d39, v41
	v_mov_b32_e32 v21, v23
	v_fma_f32 v24, v38, s0, -v26
	v_fmac_f32_e32 v25, 0x3df6dbef, v39
	v_fmac_f32_e32 v26, 0x3df6dbef, v38
	v_fma_f32 v27, v39, s0, -v27
	v_mul_lo_u16_e32 v28, 13, v223
	v_add_f32_e32 v7, v7, v20
	v_add_f32_e32 v15, v15, v30
	v_fma_f32 v20, v38, s3, -v22
	v_fmac_f32_e32 v21, 0xbeb58ec6, v39
	v_fmac_f32_e32 v22, 0xbeb58ec6, v38
	v_fma_f32 v23, v39, s3, -v23
	v_add_f32_e32 v24, v24, v34
	v_add_f32_e32 v25, v25, v35
	;; [unrolled: 1-line block ×4, first 2 shown]
	v_lshl_add_u32 v123, v28, 3, v159
	v_add_f32_e32 v20, v20, v31
	v_add_f32_e32 v21, v21, v33
	;; [unrolled: 1-line block ×4, first 2 shown]
	s_barrier
	ds_write2_b64 v123, v[12:13], v[2:3] offset1:1
	ds_write2_b64 v123, v[4:5], v[8:9] offset0:2 offset1:3
	ds_write2_b64 v123, v[14:15], v[20:21] offset0:4 offset1:5
	;; [unrolled: 1-line block ×5, first 2 shown]
	ds_write_b64 v123, v[0:1] offset:96
	s_waitcnt lgkmcnt(0)
	s_barrier
	ds_read2_b64 v[12:15], v118 offset1:68
	ds_read2_b64 v[8:11], v118 offset0:136 offset1:221
	ds_read2_b64 v[36:39], v16 offset0:186 offset1:254
	;; [unrolled: 1-line block ×4, first 2 shown]
	v_add_u32_e32 v4, 0x1400, v118
	ds_read2_b64 v[32:35], v4 offset0:91 offset1:159
	v_cmp_gt_u16_e64 s[0:1], 17, v223
                                        ; implicit-def: $vgpr46
	s_and_saveexec_b64 s[2:3], s[0:1]
	s_cbranch_execz .LBB0_3
; %bb.2:
	v_add_u32_e32 v0, 0x600, v118
	ds_read2_b64 v[0:3], v0 offset0:12 offset1:233
	ds_read2_b64 v[44:47], v4 offset0:6 offset1:227
.LBB0_3:
	s_or_b64 exec, exec, s[2:3]
	s_movk_i32 s4, 0x4f
	v_mul_lo_u16_sdwa v4, v223, s4 dst_sel:DWORD dst_unused:UNUSED_PAD src0_sel:BYTE_0 src1_sel:DWORD
	v_lshrrev_b16_e32 v115, 10, v4
	v_mul_lo_u16_e32 v4, 13, v115
	v_sub_u16_e32 v18, v223, v4
	v_add_u16_e32 v4, 0xcc, v223
	v_mul_u32_u24_e32 v5, 0x4ec5, v4
	v_lshrrev_b32_e32 v160, 18, v5
	v_mul_lo_u16_e32 v5, 13, v160
	v_sub_u16_e32 v163, v4, v5
	v_and_b32_e32 v116, 0xff, v18
	v_add_u16_e32 v18, 0x44, v223
	v_mul_lo_u16_e32 v4, 24, v163
	v_mul_lo_u16_sdwa v19, v18, s4 dst_sel:DWORD dst_unused:UNUSED_PAD src0_sel:BYTE_0 src1_sel:DWORD
	v_mov_b32_e32 v5, s15
	v_add_co_u32_e64 v16, s[2:3], s14, v4
	v_lshrrev_b16_e32 v121, 10, v19
	v_addc_co_u32_e64 v17, s[2:3], 0, v5, s[2:3]
	v_mul_lo_u16_e32 v19, 13, v121
	global_load_dwordx2 v[107:108], v[16:17], off offset:16
	global_load_dwordx4 v[4:7], v[16:17], off
	v_mad_u64_u32 v[16:17], s[2:3], v116, 24, s[14:15]
	v_sub_u16_e32 v18, v18, v19
	v_and_b32_e32 v122, 0xff, v18
	v_mad_u64_u32 v[48:49], s[2:3], v122, 24, s[14:15]
	global_load_dwordx4 v[28:31], v[16:17], off
	global_load_dwordx2 v[113:114], v[16:17], off offset:16
	global_load_dwordx4 v[20:23], v[48:49], off
	v_add_u16_e32 v16, 0x88, v223
	v_mul_lo_u16_sdwa v17, v16, s4 dst_sel:DWORD dst_unused:UNUSED_PAD src0_sel:BYTE_0 src1_sel:DWORD
	v_lshrrev_b16_e32 v124, 10, v17
	v_mul_lo_u16_e32 v17, 13, v124
	v_sub_u16_e32 v16, v16, v17
	v_and_b32_e32 v125, 0xff, v16
	v_mad_u64_u32 v[50:51], s[2:3], v125, 24, s[14:15]
	global_load_dwordx2 v[111:112], v[48:49], off offset:16
	global_load_dwordx4 v[16:19], v[50:51], off
	global_load_dwordx2 v[109:110], v[50:51], off offset:16
	s_waitcnt vmcnt(0) lgkmcnt(0)
	s_barrier
	v_mul_f32_e32 v50, v47, v108
	v_mul_f32_e32 v48, v3, v5
	;; [unrolled: 1-line block ×6, first 2 shown]
	v_fma_f32 v2, v2, v4, -v48
	v_fmac_f32_e32 v72, v3, v4
	v_fma_f32 v3, v44, v6, -v49
	v_fma_f32 v44, v46, v107, -v50
	v_mul_f32_e32 v46, v10, v29
	v_mul_f32_e32 v48, v36, v31
	;; [unrolled: 1-line block ×3, first 2 shown]
	v_fmac_f32_e32 v73, v45, v6
	v_fmac_f32_e32 v74, v47, v107
	v_mul_f32_e32 v45, v11, v29
	v_mul_f32_e32 v47, v37, v31
	;; [unrolled: 1-line block ×5, first 2 shown]
	v_fmac_f32_e32 v48, v37, v30
	v_fmac_f32_e32 v46, v11, v28
	;; [unrolled: 1-line block ×3, first 2 shown]
	v_mul_f32_e32 v57, v38, v23
	v_mul_f32_e32 v65, v24, v19
	;; [unrolled: 1-line block ×3, first 2 shown]
	v_fma_f32 v36, v36, v30, -v47
	v_fma_f32 v10, v10, v28, -v45
	;; [unrolled: 1-line block ×4, first 2 shown]
	v_fmac_f32_e32 v58, v33, v111
	v_sub_f32_e32 v32, v13, v48
	v_sub_f32_e32 v33, v46, v50
	v_mul_f32_e32 v51, v41, v21
	v_mul_f32_e32 v56, v40, v21
	;; [unrolled: 1-line block ×5, first 2 shown]
	v_fmac_f32_e32 v57, v39, v22
	v_fmac_f32_e32 v65, v25, v18
	v_fma_f32 v25, v34, v109, -v59
	v_sub_f32_e32 v27, v12, v36
	v_fma_f32 v13, v13, 2.0, -v32
	v_sub_f32_e32 v11, v10, v11
	v_fma_f32 v34, v46, 2.0, -v33
	v_fma_f32 v37, v38, v22, -v52
	v_fma_f32 v38, v40, v20, -v51
	v_fmac_f32_e32 v56, v41, v20
	v_fma_f32 v12, v12, 2.0, -v27
	v_fma_f32 v10, v10, 2.0, -v11
	v_sub_f32_e32 v49, v13, v34
	v_add_f32_e32 v51, v32, v11
	v_sub_f32_e32 v11, v15, v57
	v_mul_f32_e32 v54, v43, v17
	v_sub_f32_e32 v48, v12, v10
	v_fma_f32 v53, v13, 2.0, -v49
	v_sub_f32_e32 v50, v27, v33
	v_sub_f32_e32 v10, v14, v37
	v_fma_f32 v13, v15, 2.0, -v11
	v_sub_f32_e32 v15, v56, v58
	v_mul_f32_e32 v64, v42, v17
	v_fma_f32 v39, v42, v16, -v54
	v_fma_f32 v52, v12, 2.0, -v48
	v_fma_f32 v54, v27, 2.0, -v50
	;; [unrolled: 1-line block ×3, first 2 shown]
	v_sub_f32_e32 v14, v38, v26
	v_fma_f32 v27, v56, 2.0, -v15
	v_fmac_f32_e32 v64, v43, v16
	v_fmac_f32_e32 v66, v35, v109
	v_sub_f32_e32 v61, v13, v27
	v_add_f32_e32 v63, v11, v14
	v_fma_f32 v57, v13, 2.0, -v61
	v_fma_f32 v59, v11, 2.0, -v63
	v_sub_f32_e32 v11, v9, v65
	v_sub_f32_e32 v13, v64, v66
	;; [unrolled: 1-line block ×3, first 2 shown]
	v_fma_f32 v9, v9, 2.0, -v11
	v_fma_f32 v15, v64, 2.0, -v13
	v_fma_f32 v24, v24, v18, -v55
	v_fma_f32 v26, v38, 2.0, -v14
	v_sub_f32_e32 v69, v9, v15
	v_sub_f32_e32 v60, v12, v26
	v_fma_f32 v58, v10, 2.0, -v62
	v_sub_f32_e32 v10, v8, v24
	v_fma_f32 v65, v9, 2.0, -v69
	v_sub_f32_e32 v3, v0, v3
	v_sub_f32_e32 v9, v2, v44
	v_fma_f32 v56, v12, 2.0, -v60
	v_sub_f32_e32 v12, v39, v25
	v_sub_f32_e32 v70, v10, v13
	v_fma_f32 v0, v0, 2.0, -v3
	v_fma_f32 v2, v2, 2.0, -v9
	;; [unrolled: 1-line block ×3, first 2 shown]
	v_add_f32_e32 v71, v11, v12
	v_fma_f32 v66, v10, 2.0, -v70
	v_sub_f32_e32 v10, v72, v74
	v_sub_f32_e32 v76, v0, v2
	v_fma_f32 v67, v11, 2.0, -v71
	v_fma_f32 v11, v72, 2.0, -v10
	;; [unrolled: 1-line block ×3, first 2 shown]
	v_mul_u32_u24_e32 v0, 52, v115
	v_fma_f32 v14, v39, 2.0, -v12
	v_add_u32_e32 v0, v0, v116
	v_sub_f32_e32 v68, v8, v14
	v_lshl_add_u32 v165, v0, 3, v159
	v_mul_u32_u24_e32 v0, 52, v121
	v_fma_f32 v64, v8, 2.0, -v68
	v_sub_f32_e32 v8, v1, v73
	v_add_u32_e32 v0, v0, v122
	v_fma_f32 v1, v1, 2.0, -v8
	v_lshl_add_u32 v166, v0, 3, v159
	v_mul_u32_u24_e32 v0, 52, v124
	v_sub_f32_e32 v77, v1, v11
	v_sub_f32_e32 v78, v3, v10
	v_add_f32_e32 v79, v8, v9
	v_add_u32_e32 v0, v0, v125
	v_fma_f32 v55, v32, 2.0, -v51
	v_fma_f32 v73, v1, 2.0, -v77
	;; [unrolled: 1-line block ×4, first 2 shown]
	v_lshl_add_u32 v170, v0, 3, v159
	ds_write2_b64 v165, v[52:53], v[54:55] offset1:13
	ds_write2_b64 v165, v[48:49], v[50:51] offset0:26 offset1:39
	ds_write2_b64 v166, v[56:57], v[58:59] offset1:13
	ds_write2_b64 v166, v[60:61], v[62:63] offset0:26 offset1:39
	;; [unrolled: 2-line block ×3, first 2 shown]
	s_and_saveexec_b64 s[2:3], s[0:1]
	s_cbranch_execz .LBB0_5
; %bb.4:
	v_mad_legacy_u16 v0, v160, 52, v163
	v_lshl_add_u32 v0, v0, 3, v159
	ds_write2_b64 v0, v[72:73], v[74:75] offset1:13
	ds_write2_b64 v0, v[76:77], v[78:79] offset0:26 offset1:39
.LBB0_5:
	s_or_b64 exec, exec, s[2:3]
	v_cmp_gt_u16_e64 s[2:3], 52, v223
	s_waitcnt lgkmcnt(0)
	s_barrier
	s_waitcnt lgkmcnt(0)
                                        ; implicit-def: $vgpr115
	s_and_saveexec_b64 s[4:5], s[2:3]
	s_cbranch_execz .LBB0_7
; %bb.6:
	v_add_u32_e32 v0, 0x400, v118
	ds_read2_b64 v[52:55], v118 offset1:52
	ds_read2_b64 v[48:51], v118 offset0:104 offset1:156
	ds_read2_b64 v[56:59], v0 offset0:80 offset1:132
	v_add_u32_e32 v0, 0x800, v118
	ds_read2_b64 v[60:63], v0 offset0:56 offset1:108
	ds_read2_b64 v[64:67], v0 offset0:160 offset1:212
	v_add_u32_e32 v0, 0x1000, v118
	;; [unrolled: 3-line block ×3, first 2 shown]
	ds_read2_b64 v[76:79], v0 offset0:88 offset1:140
	ds_read_b64 v[115:116], v118 offset:6656
.LBB0_7:
	s_or_b64 exec, exec, s[4:5]
	v_lshlrev_b32_e32 v0, 4, v223
	s_movk_i32 s4, 0xfcc0
	v_add_co_u32_e64 v2, s[4:5], s4, v0
	v_addc_co_u32_e64 v1, s[4:5], 0, -1, s[4:5]
	v_cndmask_b32_e64 v1, v1, 0, s[2:3]
	v_cndmask_b32_e64 v0, v2, v0, s[2:3]
	v_lshlrev_b64 v[0:1], 3, v[0:1]
	v_mov_b32_e32 v2, s15
	v_add_co_u32_e64 v44, s[4:5], s14, v0
	v_addc_co_u32_e64 v45, s[4:5], v2, v1, s[4:5]
	global_load_dwordx4 v[36:39], v[44:45], off offset:312
	global_load_dwordx4 v[24:27], v[44:45], off offset:328
	;; [unrolled: 1-line block ×7, first 2 shown]
	s_nop 0
	global_load_dwordx4 v[44:47], v[44:45], off offset:424
	s_mov_b32 s12, 0x3f6eb680
	s_mov_b32 s14, 0x3f3d2fb0
	;; [unrolled: 1-line block ×8, first 2 shown]
	s_waitcnt vmcnt(7) lgkmcnt(8)
	v_mul_f32_e32 v127, v54, v37
	s_waitcnt lgkmcnt(7)
	v_mul_f32_e32 v128, v48, v39
	v_fmac_f32_e32 v127, v55, v36
	v_mul_f32_e32 v121, v55, v37
	s_waitcnt vmcnt(5) lgkmcnt(6)
	v_mul_f32_e32 v131, v58, v9
	s_waitcnt lgkmcnt(5)
	v_mul_f32_e32 v148, v61, v11
	s_waitcnt vmcnt(4)
	v_mul_f32_e32 v149, v63, v1
	s_waitcnt vmcnt(0) lgkmcnt(0)
	v_mul_f32_e32 v143, v115, v47
	v_mul_f32_e32 v141, v78, v45
	v_fmac_f32_e32 v143, v116, v46
	v_mul_f32_e32 v151, v67, v13
	v_mul_f32_e32 v136, v68, v15
	;; [unrolled: 1-line block ×4, first 2 shown]
	v_fmac_f32_e32 v128, v49, v38
	v_fmac_f32_e32 v141, v79, v44
	v_sub_f32_e32 v168, v127, v143
	v_mul_f32_e32 v122, v49, v39
	v_mul_f32_e32 v130, v56, v27
	;; [unrolled: 1-line block ×9, first 2 shown]
	v_fma_f32 v117, v54, v36, -v121
	v_fmac_f32_e32 v131, v59, v8
	v_fma_f32 v59, v60, v10, -v148
	v_fma_f32 v60, v62, v0, -v149
	;; [unrolled: 1-line block ×3, first 2 shown]
	v_fmac_f32_e32 v136, v69, v14
	v_fma_f32 v66, v74, v40, -v155
	v_fma_f32 v69, v115, v46, -v158
	v_mul_f32_e32 v74, 0xbeb8f4ab, v168
	v_sub_f32_e32 v172, v128, v141
	v_mul_f32_e32 v124, v51, v25
	v_mul_f32_e32 v129, v50, v25
	;; [unrolled: 1-line block ×7, first 2 shown]
	v_fma_f32 v55, v48, v38, -v122
	v_fmac_f32_e32 v130, v57, v26
	v_fma_f32 v57, v58, v8, -v147
	v_fmac_f32_e32 v133, v63, v0
	v_fma_f32 v63, v68, v14, -v152
	v_fma_f32 v68, v78, v44, -v157
	v_add_f32_e32 v58, v117, v69
	v_sub_f32_e32 v164, v117, v69
	v_mov_b32_e32 v48, v74
	v_mul_f32_e32 v121, 0xbf2c7751, v172
	v_mul_f32_e32 v134, v64, v3
	v_mul_f32_e32 v154, v73, v35
	v_fma_f32 v119, v50, v24, -v124
	v_fmac_f32_e32 v129, v51, v24
	v_fmac_f32_e32 v132, v61, v10
	v_fma_f32 v61, v64, v2, -v150
	v_fma_f32 v64, v70, v32, -v153
	v_fmac_f32_e32 v137, v71, v32
	v_fmac_f32_e32 v140, v77, v42
	v_add_f32_e32 v70, v127, v143
	v_mul_f32_e32 v115, 0xbeb8f4ab, v164
	v_fmac_f32_e32 v48, 0x3f6eb680, v58
	v_add_f32_e32 v71, v55, v68
	v_sub_f32_e32 v169, v55, v68
	v_mov_b32_e32 v50, v121
	v_mul_f32_e32 v138, v72, v35
	v_mul_f32_e32 v156, v77, v43
	v_fmac_f32_e32 v134, v65, v2
	v_fma_f32 v65, v72, v34, -v154
	v_add_f32_e32 v48, v52, v48
	v_fma_f32 v49, v70, s12, -v115
	v_add_f32_e32 v72, v128, v141
	v_mul_f32_e32 v122, 0xbf2c7751, v169
	v_fmac_f32_e32 v50, 0x3f3d2fb0, v71
	v_sub_f32_e32 v175, v129, v140
	v_fmac_f32_e32 v135, v67, v12
	v_fma_f32 v67, v76, v42, -v156
	v_add_f32_e32 v49, v53, v49
	v_add_f32_e32 v48, v50, v48
	v_fma_f32 v50, v72, s14, -v122
	v_mul_f32_e32 v124, 0xbf65296c, v175
	v_fmac_f32_e32 v138, v73, v34
	v_fmac_f32_e32 v139, v75, v40
	v_add_f32_e32 v49, v50, v49
	v_add_f32_e32 v73, v119, v67
	v_sub_f32_e32 v173, v119, v67
	v_mov_b32_e32 v50, v124
	v_fma_f32 v56, v56, v26, -v125
	v_add_f32_e32 v75, v129, v140
	v_mul_f32_e32 v125, 0xbf65296c, v173
	v_fmac_f32_e32 v50, 0x3ee437d1, v73
	v_sub_f32_e32 v178, v130, v139
	v_add_f32_e32 v48, v50, v48
	v_fma_f32 v50, v75, s15, -v125
	v_mul_f32_e32 v126, 0xbf7ee86f, v178
	v_add_f32_e32 v49, v50, v49
	v_add_f32_e32 v116, v56, v66
	v_sub_f32_e32 v177, v56, v66
	v_mov_b32_e32 v50, v126
	v_add_f32_e32 v149, v130, v139
	v_mul_f32_e32 v142, 0xbf7ee86f, v177
	v_fmac_f32_e32 v50, 0x3dbcf732, v116
	v_sub_f32_e32 v186, v131, v138
	v_add_f32_e32 v48, v50, v48
	v_fma_f32 v50, v149, s16, -v142
	v_mul_f32_e32 v144, 0xbf763a35, v186
	v_add_f32_e32 v49, v50, v49
	v_add_f32_e32 v151, v57, v65
	v_sub_f32_e32 v179, v57, v65
	v_mov_b32_e32 v50, v144
	;; [unrolled: 11-line block ×4, first 2 shown]
	v_add_f32_e32 v161, v133, v136
	v_mul_f32_e32 v150, 0xbf06c442, v199
	v_fmac_f32_e32 v50, 0xbf59a7d5, v158
	v_sub_f32_e32 v207, v134, v135
	v_add_f32_e32 v48, v50, v48
	v_fma_f32 v50, v161, s20, -v150
	v_mul_f32_e32 v152, 0xbe3c28d5, v207
	v_add_f32_e32 v49, v50, v49
	v_add_f32_e32 v162, v61, v62
	v_mov_b32_e32 v50, v152
	v_sub_f32_e32 v203, v61, v62
	v_fmac_f32_e32 v50, 0xbf7ba420, v162
	v_add_f32_e32 v167, v134, v135
	v_mul_f32_e32 v154, 0xbe3c28d5, v203
	v_add_f32_e32 v76, v50, v48
	v_fma_f32 v48, v167, s17, -v154
	v_mul_f32_e32 v180, 0xbf2c7751, v168
	v_add_f32_e32 v77, v48, v49
	v_mov_b32_e32 v48, v180
	v_mul_f32_e32 v181, 0xbf7ee86f, v172
	v_fmac_f32_e32 v48, 0x3f3d2fb0, v58
	v_mov_b32_e32 v49, v181
	v_add_f32_e32 v48, v52, v48
	v_fmac_f32_e32 v49, 0x3dbcf732, v71
	v_mul_f32_e32 v185, 0xbf2c7751, v164
	v_add_f32_e32 v48, v49, v48
	v_fma_f32 v49, v70, s14, -v185
	v_mul_f32_e32 v187, 0xbf7ee86f, v169
	v_add_f32_e32 v49, v53, v49
	v_fma_f32 v50, v72, s16, -v187
	v_mul_f32_e32 v182, 0xbf4c4adb, v175
	v_add_f32_e32 v49, v50, v49
	v_mov_b32_e32 v50, v182
	v_fmac_f32_e32 v50, 0xbf1a4643, v73
	v_mul_f32_e32 v190, 0xbf4c4adb, v173
	v_add_f32_e32 v48, v50, v48
	v_fma_f32 v50, v75, s18, -v190
	v_mul_f32_e32 v183, 0xbe3c28d5, v178
	v_add_f32_e32 v49, v50, v49
	v_mov_b32_e32 v50, v183
	v_fmac_f32_e32 v50, 0xbf7ba420, v116
	;; [unrolled: 7-line block ×6, first 2 shown]
	v_mul_f32_e32 v198, 0x3eb8f4ab, v203
	v_add_f32_e32 v78, v50, v48
	v_fma_f32 v48, v167, s12, -v198
	v_mul_f32_e32 v201, 0xbf65296c, v168
	v_add_f32_e32 v79, v48, v49
	v_mov_b32_e32 v48, v201
	v_mul_f32_e32 v202, 0xbf4c4adb, v172
	v_fmac_f32_e32 v48, 0x3ee437d1, v58
	v_mov_b32_e32 v49, v202
	v_add_f32_e32 v48, v52, v48
	v_fmac_f32_e32 v49, 0xbf1a4643, v71
	v_mul_f32_e32 v208, 0xbf65296c, v164
	v_add_f32_e32 v48, v49, v48
	v_fma_f32 v49, v70, s15, -v208
	v_mul_f32_e32 v209, 0xbf4c4adb, v169
	v_add_f32_e32 v49, v53, v49
	v_fma_f32 v50, v72, s18, -v209
	v_mul_f32_e32 v204, 0x3e3c28d5, v175
	v_add_f32_e32 v49, v50, v49
	v_mov_b32_e32 v50, v204
	v_fmac_f32_e32 v50, 0xbf7ba420, v73
	v_mul_f32_e32 v211, 0x3e3c28d5, v173
	v_add_f32_e32 v48, v50, v48
	v_fma_f32 v50, v75, s17, -v211
	v_mul_f32_e32 v205, 0x3f763a35, v178
	v_add_f32_e32 v49, v50, v49
	v_mov_b32_e32 v50, v205
	v_fmac_f32_e32 v50, 0xbe8c1d8e, v116
	;; [unrolled: 7-line block ×6, first 2 shown]
	v_mul_f32_e32 v218, 0xbf06c442, v203
	v_mul_f32_e32 v228, 0xbf7ee86f, v168
	v_fma_f32 v51, v167, s20, -v218
	v_add_f32_e32 v50, v50, v48
	v_mov_b32_e32 v48, v228
	v_mul_f32_e32 v230, 0xbe3c28d5, v172
	v_add_f32_e32 v51, v51, v49
	v_fmac_f32_e32 v48, 0x3dbcf732, v58
	v_mov_b32_e32 v49, v230
	v_add_f32_e32 v48, v52, v48
	v_fmac_f32_e32 v49, 0xbf7ba420, v71
	v_mul_f32_e32 v232, 0x3f763a35, v175
	v_add_f32_e32 v48, v49, v48
	v_mov_b32_e32 v49, v232
	v_fmac_f32_e32 v49, 0xbe8c1d8e, v73
	v_mul_f32_e32 v233, 0x3eb8f4ab, v178
	v_add_f32_e32 v48, v49, v48
	v_mov_b32_e32 v49, v233
	;; [unrolled: 4-line block ×6, first 2 shown]
	v_fmac_f32_e32 v49, 0x3f3d2fb0, v162
	v_mul_f32_e32 v248, 0xbf7ee86f, v164
	v_add_f32_e32 v48, v49, v48
	v_fma_f32 v49, v70, s16, -v248
	v_mul_f32_e32 v249, 0xbe3c28d5, v169
	v_add_f32_e32 v49, v53, v49
	v_fma_f32 v54, v72, s17, -v249
	v_mul_f32_e32 v250, 0x3f763a35, v173
	v_add_f32_e32 v49, v54, v49
	v_fma_f32 v54, v75, s19, -v250
	v_mul_f32_e32 v251, 0x3eb8f4ab, v177
	v_add_f32_e32 v49, v54, v49
	v_fma_f32 v54, v149, s12, -v251
	v_mul_f32_e32 v252, 0xbf65296c, v179
	v_add_f32_e32 v49, v54, v49
	v_fma_f32 v54, v153, s15, -v252
	v_mul_f32_e32 v253, 0xbf06c442, v189
	v_add_f32_e32 v49, v54, v49
	v_fma_f32 v54, v157, s20, -v253
	v_mul_f32_e32 v254, 0x3f4c4adb, v199
	v_add_f32_e32 v49, v54, v49
	v_fma_f32 v54, v161, s18, -v254
	v_mul_f32_e32 v255, 0x3f2c7751, v203
	v_add_f32_e32 v49, v54, v49
	v_fma_f32 v54, v167, s14, -v255
	v_add_f32_e32 v49, v54, v49
	s_and_saveexec_b64 s[4:5], s[2:3]
	s_cbranch_execz .LBB0_9
; %bb.8:
	buffer_store_dword v119, off, s[24:27], 0 offset:32 ; 4-byte Folded Spill
	v_mul_f32_e32 v119, 0xbe8c1d8e, v70
	v_mov_b32_e32 v54, v119
	v_mul_f32_e32 v244, 0xbf59a7d5, v72
	v_fmac_f32_e32 v54, 0x3f763a35, v164
	buffer_store_dword v55, off, s[24:27], 0 offset:36 ; 4-byte Folded Spill
	v_mov_b32_e32 v55, v244
	v_add_f32_e32 v54, v53, v54
	v_fmac_f32_e32 v55, 0xbf06c442, v169
	v_mul_f32_e32 v239, 0x3f3d2fb0, v75
	v_add_f32_e32 v54, v55, v54
	v_mov_b32_e32 v55, v239
	v_fmac_f32_e32 v55, 0xbf2c7751, v173
	v_mul_f32_e32 v231, 0x3ee437d1, v149
	v_add_f32_e32 v54, v55, v54
	v_mov_b32_e32 v55, v231
	;; [unrolled: 4-line block ×7, first 2 shown]
	v_mul_f32_e32 v224, 0x3f06c442, v172
	v_fmac_f32_e32 v54, 0xbe8c1d8e, v58
	buffer_store_dword v56, off, s[24:27], 0 offset:40 ; 4-byte Folded Spill
	v_mov_b32_e32 v56, v224
	v_add_f32_e32 v54, v52, v54
	v_fmac_f32_e32 v56, 0xbf59a7d5, v71
	v_mul_f32_e32 v242, 0x3f2c7751, v175
	v_add_f32_e32 v54, v56, v54
	v_mov_b32_e32 v56, v242
	v_fmac_f32_e32 v56, 0x3f3d2fb0, v73
	buffer_store_dword v223, off, s[24:27], 0 ; 4-byte Folded Spill
	v_mul_f32_e32 v223, 0xbf65296c, v178
	v_add_f32_e32 v54, v56, v54
	v_mov_b32_e32 v56, v223
	v_fmac_f32_e32 v56, 0x3ee437d1, v116
	v_mul_f32_e32 v227, 0xbe3c28d5, v186
	v_add_f32_e32 v54, v56, v54
	v_mov_b32_e32 v56, v227
	v_fmac_f32_e32 v56, 0xbf7ba420, v151
	;; [unrolled: 4-line block ×4, first 2 shown]
	buffer_store_dword v126, off, s[24:27], 0 offset:48 ; 4-byte Folded Spill
	v_mul_f32_e32 v126, 0xbf4c4adb, v207
	v_add_f32_e32 v54, v56, v54
	v_mov_b32_e32 v56, v126
	v_fmac_f32_e32 v56, 0xbf1a4643, v162
	v_mul_f32_e32 v219, 0xbf59a7d5, v70
	v_add_f32_e32 v54, v56, v54
	v_mov_b32_e32 v56, v219
	v_mul_f32_e32 v220, 0x3ee437d1, v72
	buffer_store_dword v54, off, s[24:27], 0 offset:24 ; 4-byte Folded Spill
	s_nop 0
	buffer_store_dword v55, off, s[24:27], 0 offset:28 ; 4-byte Folded Spill
	v_fmac_f32_e32 v56, 0x3f06c442, v164
	buffer_store_dword v57, off, s[24:27], 0 offset:44 ; 4-byte Folded Spill
	v_mov_b32_e32 v57, v220
	v_add_f32_e32 v56, v53, v56
	v_fmac_f32_e32 v57, 0xbf65296c, v169
	v_mul_f32_e32 v221, 0x3dbcf732, v75
	v_add_f32_e32 v56, v57, v56
	v_mov_b32_e32 v57, v221
	v_fmac_f32_e32 v57, 0x3f7ee86f, v173
	v_mul_f32_e32 v222, 0xbf1a4643, v149
	v_add_f32_e32 v56, v57, v56
	v_mov_b32_e32 v57, v222
	v_fmac_f32_e32 v57, 0xbf4c4adb, v177
	v_mul_f32_e32 v243, 0x3f6eb680, v153
	v_add_f32_e32 v56, v57, v56
	v_mov_b32_e32 v57, v243
	v_fmac_f32_e32 v57, 0x3eb8f4ab, v179
	v_mul_f32_e32 v245, 0xbf7ba420, v157
	v_add_f32_e32 v56, v57, v56
	v_mov_b32_e32 v57, v245
	v_fmac_f32_e32 v57, 0x3e3c28d5, v189
	buffer_store_dword v74, off, s[24:27], 0 offset:56 ; 4-byte Folded Spill
	v_mul_f32_e32 v74, 0x3f3d2fb0, v161
	v_add_f32_e32 v56, v57, v56
	v_mov_b32_e32 v57, v74
	v_fmac_f32_e32 v57, 0xbf2c7751, v199
	v_mul_f32_e32 v225, 0xbe8c1d8e, v167
	v_add_f32_e32 v56, v57, v56
	v_mov_b32_e32 v57, v225
	v_fmac_f32_e32 v57, 0x3f763a35, v203
	buffer_store_dword v115, off, s[24:27], 0 offset:76 ; 4-byte Folded Spill
	v_mul_f32_e32 v115, 0xbf06c442, v168
	v_add_f32_e32 v57, v57, v56
	v_mov_b32_e32 v56, v115
	buffer_store_dword v148, off, s[24:27], 0 offset:60 ; 4-byte Folded Spill
	v_mul_f32_e32 v148, 0x3f65296c, v172
	v_fmac_f32_e32 v56, 0xbf59a7d5, v58
	buffer_store_dword v121, off, s[24:27], 0 offset:68 ; 4-byte Folded Spill
	v_mov_b32_e32 v121, v148
	v_add_f32_e32 v56, v52, v56
	v_fmac_f32_e32 v121, 0x3ee437d1, v71
	buffer_store_dword v150, off, s[24:27], 0 offset:72 ; 4-byte Folded Spill
	v_mul_f32_e32 v150, 0xbf7ee86f, v175
	v_add_f32_e32 v56, v121, v56
	v_mov_b32_e32 v121, v150
	v_fmac_f32_e32 v121, 0x3dbcf732, v73
	buffer_store_dword v152, off, s[24:27], 0 offset:64 ; 4-byte Folded Spill
	v_mul_f32_e32 v152, 0x3f4c4adb, v178
	v_add_f32_e32 v56, v121, v56
	v_mov_b32_e32 v121, v152
	;; [unrolled: 5-line block ×3, first 2 shown]
	v_fmac_f32_e32 v121, 0x3f6eb680, v151
	v_mul_f32_e32 v156, 0xbe3c28d5, v197
	v_add_f32_e32 v56, v121, v56
	v_mov_b32_e32 v121, v156
	v_fmac_f32_e32 v121, 0xbf7ba420, v155
	buffer_store_dword v159, off, s[24:27], 0 offset:4 ; 4-byte Folded Spill
	v_mul_f32_e32 v159, 0x3f2c7751, v200
	v_add_f32_e32 v56, v121, v56
	v_mov_b32_e32 v121, v159
	v_fmac_f32_e32 v121, 0x3f3d2fb0, v158
	buffer_store_dword v62, off, s[24:27], 0 offset:52 ; 4-byte Folded Spill
	v_mov_b32_e32 v62, v160
	v_mul_f32_e32 v160, 0xbf763a35, v207
	v_add_f32_e32 v56, v121, v56
	v_mov_b32_e32 v121, v160
	v_fmac_f32_e32 v121, 0xbe8c1d8e, v162
	buffer_store_dword v124, off, s[24:27], 0 offset:88 ; 4-byte Folded Spill
	v_mul_f32_e32 v124, 0xbf7ba420, v70
	v_add_f32_e32 v56, v121, v56
	v_mov_b32_e32 v121, v124
	buffer_store_dword v125, off, s[24:27], 0 offset:92 ; 4-byte Folded Spill
	v_mul_f32_e32 v125, 0x3f6eb680, v72
	v_fmac_f32_e32 v121, 0x3e3c28d5, v164
	buffer_store_dword v122, off, s[24:27], 0 offset:100 ; 4-byte Folded Spill
	v_mov_b32_e32 v122, v125
	v_add_f32_e32 v121, v53, v121
	v_fmac_f32_e32 v122, 0xbeb8f4ab, v169
	buffer_store_dword v163, off, s[24:27], 0 offset:8 ; 4-byte Folded Spill
	v_mul_f32_e32 v163, 0xbf59a7d5, v75
	v_add_f32_e32 v121, v122, v121
	v_mov_b32_e32 v122, v163
	v_fmac_f32_e32 v122, 0x3f06c442, v173
	buffer_store_dword v165, off, s[24:27], 0 offset:12 ; 4-byte Folded Spill
	v_mul_f32_e32 v165, 0x3f3d2fb0, v149
	v_add_f32_e32 v121, v122, v121
	v_mov_b32_e32 v122, v165
	;; [unrolled: 5-line block ×5, first 2 shown]
	v_fmac_f32_e32 v122, 0x3f763a35, v199
	v_mul_f32_e32 v171, 0x3dbcf732, v167
	v_add_f32_e32 v121, v122, v121
	v_mov_b32_e32 v122, v171
	v_fmac_f32_e32 v122, 0xbf7ee86f, v203
	v_mul_f32_e32 v174, 0xbe3c28d5, v168
	v_add_f32_e32 v122, v122, v121
	v_mov_b32_e32 v121, v174
	buffer_store_dword v142, off, s[24:27], 0 offset:116 ; 4-byte Folded Spill
	v_mul_f32_e32 v142, 0x3eb8f4ab, v172
	v_fmac_f32_e32 v121, 0xbf7ba420, v58
	v_mov_b32_e32 v176, v142
	v_add_f32_e32 v121, v52, v121
	v_fmac_f32_e32 v176, 0x3f6eb680, v71
	buffer_store_dword v144, off, s[24:27], 0 offset:108 ; 4-byte Folded Spill
	v_mul_f32_e32 v144, 0xbf06c442, v175
	v_add_f32_e32 v121, v176, v121
	v_mov_b32_e32 v176, v144
	v_fmac_f32_e32 v176, 0xbf59a7d5, v73
	buffer_store_dword v145, off, s[24:27], 0 offset:120 ; 4-byte Folded Spill
	v_mul_f32_e32 v145, 0x3f2c7751, v178
	v_add_f32_e32 v121, v176, v121
	v_mov_b32_e32 v176, v145
	v_fmac_f32_e32 v124, 0xbe3c28d5, v164
	v_fmac_f32_e32 v176, 0x3f3d2fb0, v116
	buffer_store_dword v146, off, s[24:27], 0 offset:112 ; 4-byte Folded Spill
	v_mul_f32_e32 v146, 0xbf4c4adb, v186
	v_add_f32_e32 v55, v53, v124
	v_fmac_f32_e32 v125, 0x3eb8f4ab, v169
	v_add_f32_e32 v121, v176, v121
	v_mov_b32_e32 v176, v146
	v_add_f32_e32 v55, v125, v55
	v_fmac_f32_e32 v163, 0xbf06c442, v173
	v_fma_f32 v124, v58, s17, -v174
	v_fmac_f32_e32 v176, 0xbf1a4643, v151
	buffer_store_dword v147, off, s[24:27], 0 offset:124 ; 4-byte Folded Spill
	v_mul_f32_e32 v147, 0x3f65296c, v197
	v_add_f32_e32 v55, v163, v55
	v_fmac_f32_e32 v165, 0x3f2c7751, v177
	v_add_f32_e32 v124, v52, v124
	v_fma_f32 v125, v71, s12, -v142
	v_add_f32_e32 v121, v176, v121
	v_mov_b32_e32 v176, v147
	v_add_f32_e32 v55, v165, v55
	v_fmac_f32_e32 v166, 0xbf4c4adb, v179
	v_add_f32_e32 v124, v125, v124
	v_fma_f32 v125, v73, s20, -v144
	v_fmac_f32_e32 v176, 0x3ee437d1, v155
	buffer_store_dword v59, off, s[24:27], 0 offset:96 ; 4-byte Folded Spill
	v_mul_f32_e32 v59, 0xbf763a35, v200
	v_add_f32_e32 v55, v166, v55
	v_fmac_f32_e32 v117, 0x3f65296c, v189
	v_add_f32_e32 v124, v125, v124
	v_fma_f32 v125, v116, s14, -v145
	v_add_f32_e32 v121, v176, v121
	v_mov_b32_e32 v176, v59
	v_add_f32_e32 v55, v117, v55
	v_fmac_f32_e32 v170, 0xbf763a35, v199
	v_add_f32_e32 v124, v125, v124
	v_fma_f32 v125, v151, s18, -v146
	v_fmac_f32_e32 v176, 0xbe8c1d8e, v158
	buffer_store_dword v60, off, s[24:27], 0 offset:104 ; 4-byte Folded Spill
	v_mul_f32_e32 v60, 0x3f7ee86f, v207
	v_add_f32_e32 v55, v170, v55
	v_add_f32_e32 v124, v125, v124
	v_fma_f32 v125, v155, s15, -v147
	v_fmac_f32_e32 v171, 0x3f7ee86f, v203
	v_fmac_f32_e32 v219, 0xbf06c442, v164
	v_add_f32_e32 v121, v176, v121
	v_mov_b32_e32 v176, v60
	v_add_f32_e32 v124, v125, v124
	v_add_f32_e32 v125, v171, v55
	v_fma_f32 v55, v162, s16, -v60
	v_add_f32_e32 v60, v53, v219
	v_fmac_f32_e32 v220, 0x3f65296c, v169
	v_add_f32_e32 v60, v220, v60
	v_fmac_f32_e32 v221, 0xbf7ee86f, v173
	;; [unrolled: 2-line block ×7, first 2 shown]
	v_add_f32_e32 v220, v225, v60
	v_fma_f32 v60, v58, s20, -v115
	v_add_f32_e32 v60, v52, v60
	v_fma_f32 v74, v71, s15, -v148
	;; [unrolled: 2-line block ×8, first 2 shown]
	v_add_f32_e32 v219, v74, v60
	v_mul_f32_e32 v60, 0xbf4c4adb, v164
	v_mov_b32_e32 v74, v60
	v_mul_f32_e32 v115, 0x3f763a35, v169
	v_fmac_f32_e32 v74, 0xbf1a4643, v70
	v_mov_b32_e32 v148, v115
	v_add_f32_e32 v74, v53, v74
	v_fmac_f32_e32 v148, 0xbe8c1d8e, v72
	v_add_f32_e32 v74, v148, v74
	v_mul_f32_e32 v148, 0xbeb8f4ab, v173
	v_mov_b32_e32 v150, v148
	v_fmac_f32_e32 v150, 0x3f6eb680, v75
	v_add_f32_e32 v74, v150, v74
	v_mul_f32_e32 v150, 0xbf06c442, v177
	v_mov_b32_e32 v152, v150
	;; [unrolled: 4-line block ×6, first 2 shown]
	v_fmac_f32_e32 v160, 0x3ee437d1, v167
	v_add_f32_e32 v222, v160, v74
	v_mul_f32_e32 v74, 0xbf4c4adb, v168
	v_fmac_f32_e32 v119, 0xbf763a35, v164
	v_fma_f32 v160, v58, s18, -v74
	v_mul_f32_e32 v225, 0x3f763a35, v172
	v_add_f32_e32 v119, v53, v119
	v_fmac_f32_e32 v244, 0x3f06c442, v169
	v_add_f32_e32 v160, v52, v160
	v_fma_f32 v168, v71, s19, -v225
	v_mul_f32_e32 v175, 0xbeb8f4ab, v175
	v_add_f32_e32 v119, v244, v119
	v_fmac_f32_e32 v239, 0x3f2c7751, v173
	v_add_f32_e32 v160, v168, v160
	;; [unrolled: 5-line block ×7, first 2 shown]
	v_fma_f32 v168, v162, s15, -v207
	v_add_f32_e32 v169, v246, v119
	v_fma_f32 v119, v58, s19, -v234
	v_add_f32_e32 v221, v168, v160
	v_add_f32_e32 v119, v52, v119
	v_fma_f32 v160, v71, s20, -v224
	v_add_f32_e32 v119, v160, v119
	v_fma_f32 v160, v73, s14, -v242
	;; [unrolled: 2-line block ×6, first 2 shown]
	v_add_f32_e32 v119, v160, v119
	v_mov_b32_e32 v160, v62
	v_fma_f32 v126, v162, s18, -v126
	v_mul_f32_e32 v62, 0x3dbcf732, v70
	v_add_f32_e32 v168, v126, v119
	v_add_f32_e32 v119, v248, v62
	v_mul_f32_e32 v62, 0xbf7ba420, v72
	v_add_f32_e32 v119, v53, v119
	v_add_f32_e32 v126, v249, v62
	;; [unrolled: 3-line block ×4, first 2 shown]
	v_mul_f32_e32 v62, 0x3ee437d1, v153
	v_mul_f32_e32 v54, 0xbf59a7d5, v157
	v_add_f32_e32 v119, v126, v119
	v_add_f32_e32 v126, v252, v62
	v_mul_f32_e32 v144, 0xbf1a4643, v161
	v_add_f32_e32 v119, v126, v119
	v_add_f32_e32 v54, v253, v54
	v_mov_b32_e32 v145, v67
	v_mov_b32_e32 v67, v66
	;; [unrolled: 1-line block ×6, first 2 shown]
	v_mul_f32_e32 v61, 0x3f3d2fb0, v167
	v_add_f32_e32 v54, v54, v119
	v_add_f32_e32 v119, v254, v144
	;; [unrolled: 1-line block ×5, first 2 shown]
	v_mul_f32_e32 v54, 0x3dbcf732, v58
	v_sub_f32_e32 v54, v54, v228
	v_mul_f32_e32 v61, 0xbf7ba420, v71
	v_add_f32_e32 v54, v52, v54
	v_sub_f32_e32 v61, v61, v230
	v_add_f32_e32 v54, v61, v54
	v_mul_f32_e32 v61, 0xbe8c1d8e, v73
	v_sub_f32_e32 v61, v61, v232
	v_add_f32_e32 v54, v61, v54
	v_mul_f32_e32 v61, 0x3f6eb680, v116
	v_sub_f32_e32 v61, v61, v233
	v_fmac_f32_e32 v176, 0x3dbcf732, v162
	v_add_f32_e32 v54, v61, v54
	v_mul_f32_e32 v61, 0x3ee437d1, v151
	v_add_f32_e32 v121, v176, v121
	v_mul_f32_e32 v176, 0xbf59a7d5, v155
	v_sub_f32_e32 v61, v61, v236
	v_mul_f32_e32 v142, 0xbf1a4643, v158
	v_add_f32_e32 v54, v61, v54
	v_sub_f32_e32 v61, v176, v237
	v_mul_f32_e32 v171, 0x3f3d2fb0, v162
	v_add_f32_e32 v54, v61, v54
	v_sub_f32_e32 v61, v142, v238
	v_add_f32_e32 v54, v61, v54
	v_sub_f32_e32 v61, v171, v241
	v_add_f32_e32 v172, v61, v54
	v_mul_f32_e32 v54, 0x3ee437d1, v70
	v_add_f32_e32 v54, v208, v54
	v_mul_f32_e32 v61, 0xbf1a4643, v72
	v_add_f32_e32 v54, v53, v54
	v_add_f32_e32 v61, v209, v61
	;; [unrolled: 1-line block ×3, first 2 shown]
	v_mul_f32_e32 v61, 0xbf7ba420, v75
	v_add_f32_e32 v61, v211, v61
	v_add_f32_e32 v54, v61, v54
	v_mul_f32_e32 v61, 0xbe8c1d8e, v149
	v_add_f32_e32 v61, v213, v61
	v_add_f32_e32 v54, v61, v54
	v_mul_f32_e32 v61, 0x3f3d2fb0, v153
	v_add_f32_e32 v61, v215, v61
	v_fma_f32 v59, v158, s19, -v59
	v_add_f32_e32 v54, v61, v54
	v_mul_f32_e32 v61, 0x3f6eb680, v157
	v_mul_f32_e32 v170, 0x3dbcf732, v161
	v_add_f32_e32 v59, v59, v124
	v_add_f32_e32 v61, v216, v61
	;; [unrolled: 1-line block ×3, first 2 shown]
	v_mul_f32_e32 v59, 0xbf59a7d5, v167
	v_add_f32_e32 v54, v61, v54
	v_add_f32_e32 v61, v217, v170
	v_add_f32_e32 v54, v61, v54
	v_add_f32_e32 v59, v218, v59
	v_add_f32_e32 v178, v59, v54
	v_mul_f32_e32 v54, 0x3ee437d1, v58
	v_sub_f32_e32 v54, v54, v201
	v_mul_f32_e32 v59, 0xbf1a4643, v71
	v_add_f32_e32 v54, v52, v54
	v_sub_f32_e32 v59, v59, v202
	v_add_f32_e32 v54, v59, v54
	v_mul_f32_e32 v59, 0xbf7ba420, v73
	v_sub_f32_e32 v59, v59, v204
	v_add_f32_e32 v54, v59, v54
	v_mul_f32_e32 v59, 0xbe8c1d8e, v116
	v_sub_f32_e32 v59, v59, v205
	v_add_f32_e32 v54, v59, v54
	v_mul_f32_e32 v59, 0x3f3d2fb0, v151
	v_sub_f32_e32 v59, v59, v206
	v_add_f32_e32 v54, v59, v54
	v_mul_f32_e32 v59, 0x3f6eb680, v155
	v_mul_f32_e32 v117, 0x3dbcf732, v158
	v_sub_f32_e32 v59, v59, v210
	v_mul_f32_e32 v55, 0xbf59a7d5, v162
	v_add_f32_e32 v54, v59, v54
	v_sub_f32_e32 v59, v117, v212
	v_add_f32_e32 v54, v59, v54
	v_sub_f32_e32 v55, v55, v214
	v_add_f32_e32 v177, v55, v54
	v_mul_f32_e32 v54, 0x3f3d2fb0, v70
	v_add_f32_e32 v54, v185, v54
	v_mul_f32_e32 v55, 0x3dbcf732, v72
	v_add_f32_e32 v54, v53, v54
	v_add_f32_e32 v55, v187, v55
	;; [unrolled: 1-line block ×3, first 2 shown]
	v_mul_f32_e32 v55, 0xbf1a4643, v75
	v_add_f32_e32 v55, v190, v55
	v_add_f32_e32 v54, v55, v54
	v_mul_f32_e32 v55, 0xbf7ba420, v149
	v_add_f32_e32 v55, v192, v55
	v_add_f32_e32 v54, v55, v54
	;; [unrolled: 3-line block ×3, first 2 shown]
	v_mul_f32_e32 v55, 0xbe8c1d8e, v157
	v_mul_f32_e32 v166, 0x3ee437d1, v161
	v_add_f32_e32 v55, v195, v55
	v_mul_f32_e32 v174, 0x3f6eb680, v167
	v_add_f32_e32 v54, v55, v54
	v_add_f32_e32 v55, v196, v166
	;; [unrolled: 1-line block ×5, first 2 shown]
	v_mul_f32_e32 v54, 0x3f3d2fb0, v58
	v_sub_f32_e32 v54, v54, v180
	v_mul_f32_e32 v55, 0x3dbcf732, v71
	v_add_f32_e32 v54, v52, v54
	v_sub_f32_e32 v55, v55, v181
	v_add_f32_e32 v54, v55, v54
	v_mul_f32_e32 v55, 0xbf1a4643, v73
	v_sub_f32_e32 v55, v55, v182
	v_add_f32_e32 v54, v55, v54
	v_mul_f32_e32 v55, 0xbf7ba420, v116
	;; [unrolled: 3-line block ×4, first 2 shown]
	v_mul_f32_e32 v165, 0x3ee437d1, v158
	v_sub_f32_e32 v55, v55, v188
	v_mul_f32_e32 v147, 0x3f6eb680, v162
	v_add_f32_e32 v54, v55, v54
	v_sub_f32_e32 v55, v165, v191
	v_add_f32_e32 v54, v55, v54
	v_sub_f32_e32 v55, v147, v193
	v_add_f32_e32 v184, v55, v54
	buffer_load_dword v55, off, s[24:27], 0 offset:76 ; 4-byte Folded Reload
	buffer_load_dword v59, off, s[24:27], 0 offset:100 ; 4-byte Folded Reload
	v_mul_f32_e32 v54, 0x3f6eb680, v70
	v_mul_f32_e32 v146, 0xbf7ba420, v167
	;; [unrolled: 1-line block ×3, first 2 shown]
	buffer_load_dword v170, off, s[24:27], 0 offset:20 ; 4-byte Folded Reload
	buffer_load_dword v166, off, s[24:27], 0 offset:16 ; 4-byte Folded Reload
	buffer_load_dword v223, off, s[24:27], 0 ; 4-byte Folded Reload
	v_fmac_f32_e32 v74, 0xbf1a4643, v58
	v_fmac_f32_e32 v225, 0xbe8c1d8e, v71
	;; [unrolled: 1-line block ×8, first 2 shown]
	s_waitcnt vmcnt(4)
	v_add_f32_e32 v54, v55, v54
	v_mul_f32_e32 v55, 0x3f3d2fb0, v72
	s_waitcnt vmcnt(3)
	v_add_f32_e32 v55, v59, v55
	buffer_load_dword v59, off, s[24:27], 0 offset:92 ; 4-byte Folded Reload
	v_add_f32_e32 v54, v53, v54
	v_add_f32_e32 v54, v55, v54
	v_mul_f32_e32 v55, 0x3ee437d1, v75
	s_waitcnt vmcnt(0)
	v_add_f32_e32 v55, v59, v55
	buffer_load_dword v59, off, s[24:27], 0 offset:116 ; 4-byte Folded Reload
	v_add_f32_e32 v54, v55, v54
	v_mul_f32_e32 v55, 0x3dbcf732, v149
	s_waitcnt vmcnt(0)
	v_add_f32_e32 v55, v59, v55
	buffer_load_dword v59, off, s[24:27], 0 offset:120 ; 4-byte Folded Reload
	v_add_f32_e32 v54, v55, v54
	v_mul_f32_e32 v55, 0xbe8c1d8e, v153
	s_waitcnt vmcnt(0)
	v_add_f32_e32 v55, v59, v55
	buffer_load_dword v59, off, s[24:27], 0 offset:124 ; 4-byte Folded Reload
	v_add_f32_e32 v54, v55, v54
	v_mul_f32_e32 v55, 0xbf1a4643, v157
	s_waitcnt vmcnt(0)
	v_add_f32_e32 v55, v59, v55
	v_add_f32_e32 v54, v55, v54
	buffer_load_dword v55, off, s[24:27], 0 offset:72 ; 4-byte Folded Reload
	v_mul_f32_e32 v59, 0xbf59a7d5, v161
	s_waitcnt vmcnt(0)
	v_add_f32_e32 v55, v55, v59
	v_add_f32_e32 v54, v55, v54
	buffer_load_dword v55, off, s[24:27], 0 offset:80 ; 4-byte Folded Reload
	buffer_load_dword v59, off, s[24:27], 0 offset:68 ; 4-byte Folded Reload
	s_waitcnt vmcnt(1)
	v_add_f32_e32 v55, v55, v146
	v_add_f32_e32 v164, v55, v54
	buffer_load_dword v55, off, s[24:27], 0 offset:56 ; 4-byte Folded Reload
	v_mul_f32_e32 v54, 0x3f6eb680, v58
	s_waitcnt vmcnt(0)
	v_sub_f32_e32 v54, v54, v55
	v_mul_f32_e32 v55, 0x3f3d2fb0, v71
	v_sub_f32_e32 v55, v55, v59
	buffer_load_dword v59, off, s[24:27], 0 offset:88 ; 4-byte Folded Reload
	v_add_f32_e32 v54, v52, v54
	v_add_f32_e32 v54, v55, v54
	v_mul_f32_e32 v55, 0x3ee437d1, v73
	s_waitcnt vmcnt(0)
	v_sub_f32_e32 v55, v55, v59
	buffer_load_dword v59, off, s[24:27], 0 offset:48 ; 4-byte Folded Reload
	v_add_f32_e32 v54, v55, v54
	v_mul_f32_e32 v55, 0x3dbcf732, v116
	s_waitcnt vmcnt(0)
	v_sub_f32_e32 v55, v55, v59
	buffer_load_dword v59, off, s[24:27], 0 offset:108 ; 4-byte Folded Reload
	;; [unrolled: 5-line block ×3, first 2 shown]
	v_add_f32_e32 v54, v55, v54
	v_mul_f32_e32 v55, 0xbf1a4643, v155
	s_waitcnt vmcnt(0)
	v_sub_f32_e32 v55, v55, v59
	v_add_f32_e32 v54, v55, v54
	buffer_load_dword v55, off, s[24:27], 0 offset:60 ; 4-byte Folded Reload
	v_mul_f32_e32 v59, 0xbf59a7d5, v158
	s_waitcnt vmcnt(0)
	v_sub_f32_e32 v55, v59, v55
	v_add_f32_e32 v54, v55, v54
	buffer_load_dword v55, off, s[24:27], 0 offset:64 ; 4-byte Folded Reload
	s_waitcnt vmcnt(0)
	v_sub_f32_e32 v55, v163, v55
	v_add_f32_e32 v163, v55, v54
	v_add_f32_e32 v54, v53, v127
	;; [unrolled: 1-line block ×17, first 2 shown]
	buffer_load_dword v54, off, s[24:27], 0 offset:84 ; 4-byte Folded Reload
	buffer_load_dword v55, off, s[24:27], 0 offset:36 ; 4-byte Folded Reload
	;; [unrolled: 1-line block ×3, first 2 shown]
	s_waitcnt vmcnt(2)
	v_add_f32_e32 v54, v52, v54
	s_waitcnt vmcnt(1)
	v_add_f32_e32 v54, v54, v55
	buffer_load_dword v55, off, s[24:27], 0 offset:32 ; 4-byte Folded Reload
	v_add_f32_e32 v52, v52, v74
	v_add_f32_e32 v52, v225, v52
	;; [unrolled: 1-line block ×8, first 2 shown]
	s_waitcnt vmcnt(0)
	v_add_f32_e32 v54, v54, v55
	buffer_load_dword v55, off, s[24:27], 0 offset:40 ; 4-byte Folded Reload
	s_waitcnt vmcnt(0)
	v_add_f32_e32 v54, v54, v55
	buffer_load_dword v55, off, s[24:27], 0 offset:44 ; 4-byte Folded Reload
	;; [unrolled: 3-line block ×5, first 2 shown]
	v_add_f32_e32 v54, v54, v63
	s_waitcnt vmcnt(0)
	v_add_f32_e32 v54, v54, v55
	v_add_f32_e32 v54, v54, v64
	v_add_f32_e32 v54, v54, v65
	v_add_f32_e32 v54, v54, v66
	v_add_f32_e32 v54, v54, v67
	v_add_f32_e32 v54, v54, v145
	v_add_f32_e32 v54, v54, v68
	v_add_f32_e32 v127, v54, v69
	v_fma_f32 v54, v70, s18, -v60
	v_add_f32_e32 v53, v53, v54
	v_fma_f32 v54, v72, s19, -v115
	v_add_f32_e32 v53, v54, v53
	v_fma_f32 v54, v75, s12, -v148
	v_add_f32_e32 v53, v54, v53
	v_fma_f32 v54, v149, s20, -v150
	v_add_f32_e32 v53, v54, v53
	v_fma_f32 v54, v153, s16, -v152
	v_add_f32_e32 v53, v54, v53
	v_fma_f32 v54, v157, s14, -v154
	v_add_f32_e32 v53, v54, v53
	v_fma_f32 v54, v161, s17, -v156
	v_add_f32_e32 v53, v54, v53
	v_fma_f32 v54, v167, s15, -v159
	buffer_load_dword v159, off, s[24:27], 0 offset:4 ; 4-byte Folded Reload
	v_add_f32_e32 v53, v54, v53
	ds_write_b64 v118, v[127:128]
	s_waitcnt vmcnt(0)
	v_lshl_add_u32 v54, v223, 3, v159
	v_add_u32_e32 v55, 0x800, v54
	ds_write2_b64 v54, v[163:164], v[184:185] offset0:52 offset1:104
	buffer_load_dword v163, off, s[24:27], 0 offset:8 ; 4-byte Folded Reload
	ds_write2_b64 v54, v[177:178], v[172:173] offset0:156 offset1:208
	ds_write2_b64 v55, v[168:169], v[221:222] offset0:4 offset1:56
	;; [unrolled: 1-line block ×3, first 2 shown]
	v_add_u32_e32 v55, 0xc00, v54
	ds_write2_b64 v55, v[121:122], v[56:57] offset0:84 offset1:136
	buffer_load_dword v56, off, s[24:27], 0 offset:24 ; 4-byte Folded Reload
	buffer_load_dword v57, off, s[24:27], 0 offset:28 ; 4-byte Folded Reload
	v_add_u32_e32 v55, 0x1000, v54
	s_waitcnt vmcnt(0)
	ds_write2_b64 v55, v[52:53], v[56:57] offset0:60 offset1:112
	ds_write2_b64 v55, v[48:49], v[50:51] offset0:164 offset1:216
	v_add_u32_e32 v52, 0x1800, v54
	ds_write2_b64 v52, v[78:79], v[76:77] offset0:12 offset1:64
.LBB0_9:
	s_or_b64 exec, exec, s[4:5]
	v_mov_b32_e32 v52, s13
	v_addc_co_u32_e32 v55, vcc, 0, v52, vcc
	v_add_co_u32_e32 v52, vcc, 0x1ba0, v120
	s_mov_b64 s[4:5], vcc
	v_add_co_u32_e32 v53, vcc, 0x1000, v120
	v_addc_co_u32_e32 v54, vcc, 0, v55, vcc
	s_waitcnt lgkmcnt(0)
	s_barrier
	global_load_dwordx2 v[61:62], v[53:54], off offset:2976
	v_addc_co_u32_e64 v53, vcc, 0, v55, s[4:5]
	global_load_dwordx2 v[73:74], v[52:53], off offset:544
	global_load_dwordx2 v[115:116], v[52:53], off offset:1088
	;; [unrolled: 1-line block ×7, first 2 shown]
	s_movk_i32 s4, 0x2000
	v_add_co_u32_e32 v52, vcc, s4, v120
	v_addc_co_u32_e32 v53, vcc, 0, v55, vcc
	global_load_dwordx2 v[133:134], v[52:53], off offset:3232
	global_load_dwordx2 v[135:136], v[52:53], off offset:3776
	s_movk_i32 s4, 0x3000
	v_add_co_u32_e32 v52, vcc, s4, v120
	v_addc_co_u32_e32 v53, vcc, 0, v55, vcc
	global_load_dwordx2 v[137:138], v[52:53], off offset:224
	global_load_dwordx2 v[139:140], v[52:53], off offset:768
	;; [unrolled: 1-line block ×3, first 2 shown]
	ds_read2_b64 v[53:56], v118 offset1:68
	v_add_u32_e32 v117, 0x400, v118
	v_lshl_add_u32 v120, v223, 3, v159
	v_add_u32_e32 v64, 0x800, v118
	v_add_u32_e32 v119, 0xc00, v118
	ds_read2_b64 v[57:60], v117 offset0:8 offset1:144
	ds_read_b64 v[143:144], v120 offset:1632
	ds_read2_b64 v[65:68], v64 offset0:84 offset1:152
	ds_read2_b64 v[69:72], v119 offset0:92 offset1:160
	v_add_u32_e32 v52, 0x1000, v118
	s_mov_b32 s12, 0x3f62ad3f
	s_mov_b32 s5, 0x3f116cb1
	;; [unrolled: 1-line block ×6, first 2 shown]
	s_waitcnt vmcnt(11) lgkmcnt(4)
	v_mul_f32_e32 v145, v56, v74
	v_mul_f32_e32 v75, v55, v74
	s_waitcnt vmcnt(10) lgkmcnt(3)
	v_mul_f32_e32 v147, v58, v116
	v_mul_f32_e32 v126, v54, v62
	;; [unrolled: 1-line block ×4, first 2 shown]
	s_waitcnt vmcnt(9) lgkmcnt(2)
	v_mul_f32_e32 v148, v144, v122
	v_mul_f32_e32 v116, v143, v122
	s_waitcnt vmcnt(8)
	v_mul_f32_e32 v149, v60, v125
	v_mul_f32_e32 v122, v59, v125
	s_waitcnt vmcnt(7) lgkmcnt(1)
	v_mul_f32_e32 v150, v66, v128
	v_mul_f32_e32 v125, v65, v128
	s_waitcnt vmcnt(6)
	v_mul_f32_e32 v151, v68, v130
	v_mul_f32_e32 v128, v67, v130
	v_fma_f32 v62, v53, v61, -v126
	v_fmac_f32_e32 v63, v54, v61
	v_fma_f32 v74, v55, v73, -v145
	v_fmac_f32_e32 v75, v56, v73
	;; [unrolled: 2-line block ×7, first 2 shown]
	ds_write2_b64 v118, v[62:63], v[74:75] offset1:68
	ds_write_b64 v120, v[115:116] offset:1632
	ds_write2_b64 v117, v[145:146], v[121:122] offset0:8 offset1:144
	ds_write2_b64 v64, v[124:125], v[127:128] offset0:84 offset1:152
	ds_read2_b64 v[53:56], v52 offset0:100 offset1:168
	s_waitcnt vmcnt(5) lgkmcnt(5)
	v_mul_f32_e32 v152, v70, v132
	v_mul_f32_e32 v130, v69, v132
	s_waitcnt vmcnt(4)
	v_mul_f32_e32 v132, v72, v134
	v_mul_f32_e32 v58, v71, v134
	v_fma_f32 v129, v69, v131, -v152
	v_fmac_f32_e32 v130, v70, v131
	v_fma_f32 v57, v71, v133, -v132
	v_fmac_f32_e32 v58, v72, v133
	ds_write2_b64 v119, v[129:130], v[57:58] offset0:92 offset1:160
	s_waitcnt vmcnt(3) lgkmcnt(1)
	v_mul_f32_e32 v57, v54, v136
	v_add_u32_e32 v65, 0x1400, v118
	v_fma_f32 v61, v53, v135, -v57
	ds_read2_b64 v[57:60], v65 offset0:108 offset1:176
	v_mul_f32_e32 v62, v53, v136
	v_fmac_f32_e32 v62, v54, v135
	s_waitcnt vmcnt(2)
	v_mul_f32_e32 v53, v56, v138
	v_mul_f32_e32 v54, v55, v138
	v_fma_f32 v53, v55, v137, -v53
	v_fmac_f32_e32 v54, v56, v137
	ds_write2_b64 v52, v[61:62], v[53:54] offset0:100 offset1:168
	s_waitcnt vmcnt(1) lgkmcnt(1)
	v_mul_f32_e32 v53, v58, v140
	v_mul_f32_e32 v54, v57, v140
	s_waitcnt vmcnt(0)
	v_mul_f32_e32 v55, v60, v142
	v_mul_f32_e32 v56, v59, v142
	v_fma_f32 v53, v57, v139, -v53
	v_fmac_f32_e32 v54, v58, v139
	v_fma_f32 v55, v59, v141, -v55
	v_fmac_f32_e32 v56, v60, v141
	ds_write2_b64 v65, v[53:54], v[55:56] offset0:108 offset1:176
	s_waitcnt lgkmcnt(0)
	s_barrier
	ds_read2_b64 v[53:56], v118 offset1:68
	ds_read2_b64 v[57:60], v117 offset0:8 offset1:144
	ds_read_b64 v[61:62], v120 offset:1632
	ds_read2_b64 v[66:69], v64 offset0:84 offset1:152
	ds_read2_b64 v[70:73], v119 offset0:92 offset1:160
	;; [unrolled: 1-line block ×4, first 2 shown]
	s_waitcnt lgkmcnt(6)
	v_add_f32_e32 v63, v53, v55
	v_add_f32_e32 v74, v54, v56
	s_waitcnt lgkmcnt(5)
	v_add_f32_e32 v63, v63, v57
	v_add_f32_e32 v74, v74, v58
	;; [unrolled: 3-line block ×3, first 2 shown]
	v_add_f32_e32 v63, v63, v59
	v_add_f32_e32 v74, v74, v60
	s_waitcnt lgkmcnt(3)
	v_add_f32_e32 v63, v63, v66
	v_add_f32_e32 v74, v74, v67
	v_add_f32_e32 v63, v63, v68
	v_add_f32_e32 v74, v74, v69
	s_waitcnt lgkmcnt(2)
	v_add_f32_e32 v63, v63, v70
	v_add_f32_e32 v74, v74, v71
	;; [unrolled: 5-line block ×4, first 2 shown]
	v_sub_f32_e32 v56, v56, v134
	v_add_f32_e32 v75, v74, v132
	v_add_f32_e32 v74, v63, v133
	;; [unrolled: 1-line block ×3, first 2 shown]
	v_sub_f32_e32 v55, v55, v133
	v_mul_f32_e32 v116, 0xbeedf032, v56
	v_mul_f32_e32 v122, 0xbf52af12, v56
	;; [unrolled: 1-line block ×6, first 2 shown]
	v_add_f32_e32 v75, v75, v134
	v_mov_b32_e32 v117, v116
	v_mov_b32_e32 v124, v122
	;; [unrolled: 1-line block ×6, first 2 shown]
	v_fmac_f32_e32 v117, 0x3f62ad3f, v63
	v_mul_f32_e32 v119, 0x3f62ad3f, v115
	v_fma_f32 v116, v63, s12, -v116
	v_fmac_f32_e32 v124, 0x3f116cb1, v63
	v_mul_f32_e32 v125, 0x3f116cb1, v115
	v_fma_f32 v122, v63, s5, -v122
	;; [unrolled: 3-line block ×6, first 2 shown]
	v_add_f32_e32 v117, v53, v117
	v_mov_b32_e32 v121, v119
	v_add_f32_e32 v116, v53, v116
	v_add_f32_e32 v124, v53, v124
	v_mov_b32_e32 v126, v125
	v_add_f32_e32 v122, v53, v122
	;; [unrolled: 3-line block ×6, first 2 shown]
	v_add_f32_e32 v56, v132, v58
	v_sub_f32_e32 v58, v58, v132
	v_fmac_f32_e32 v121, 0x3eedf032, v55
	v_fmac_f32_e32 v119, 0xbeedf032, v55
	;; [unrolled: 1-line block ×12, first 2 shown]
	v_mul_f32_e32 v63, 0xbf52af12, v58
	v_add_f32_e32 v121, v54, v121
	v_add_f32_e32 v119, v54, v119
	;; [unrolled: 1-line block ×13, first 2 shown]
	v_mov_b32_e32 v115, v63
	v_fmac_f32_e32 v115, 0x3f116cb1, v55
	v_sub_f32_e32 v57, v57, v131
	v_add_f32_e32 v115, v115, v117
	v_mul_f32_e32 v117, 0x3f116cb1, v56
	v_mov_b32_e32 v131, v117
	v_fma_f32 v63, v55, s5, -v63
	v_fmac_f32_e32 v117, 0xbf52af12, v57
	v_add_f32_e32 v63, v63, v116
	v_add_f32_e32 v116, v117, v119
	v_mul_f32_e32 v117, 0xbf6f5d39, v58
	v_mov_b32_e32 v119, v117
	v_fmac_f32_e32 v119, 0xbeb58ec6, v55
	v_fmac_f32_e32 v131, 0x3f52af12, v57
	v_add_f32_e32 v119, v119, v124
	v_mul_f32_e32 v124, 0xbeb58ec6, v56
	v_add_f32_e32 v121, v131, v121
	v_mov_b32_e32 v131, v124
	v_fma_f32 v117, v55, s13, -v117
	v_fmac_f32_e32 v124, 0xbf6f5d39, v57
	v_add_f32_e32 v117, v117, v122
	v_add_f32_e32 v122, v124, v125
	v_mul_f32_e32 v124, 0xbe750f2a, v58
	v_fmac_f32_e32 v131, 0x3f6f5d39, v57
	v_mov_b32_e32 v125, v124
	v_fma_f32 v124, v55, s15, -v124
	v_add_f32_e32 v126, v131, v126
	v_fmac_f32_e32 v125, 0xbf788fa5, v55
	v_mul_f32_e32 v131, 0xbf788fa5, v56
	v_add_f32_e32 v124, v124, v133
	v_mul_f32_e32 v133, 0x3f29c268, v58
	v_add_f32_e32 v125, v125, v134
	v_mov_b32_e32 v132, v131
	v_fmac_f32_e32 v131, 0xbe750f2a, v57
	v_mov_b32_e32 v134, v133
	v_fma_f32 v133, v55, s14, -v133
	v_fmac_f32_e32 v132, 0x3e750f2a, v57
	v_add_f32_e32 v131, v131, v135
	v_fmac_f32_e32 v134, 0xbf3f9e67, v55
	v_mul_f32_e32 v135, 0xbf3f9e67, v56
	v_add_f32_e32 v133, v133, v137
	v_mul_f32_e32 v137, 0x3f7e222b, v58
	v_add_f32_e32 v132, v132, v136
	v_add_f32_e32 v134, v134, v138
	v_mov_b32_e32 v136, v135
	v_fmac_f32_e32 v135, 0x3f29c268, v57
	v_mov_b32_e32 v138, v137
	v_fma_f32 v137, v55, s4, -v137
	v_mul_f32_e32 v58, 0x3eedf032, v58
	v_fmac_f32_e32 v136, 0xbf29c268, v57
	v_add_f32_e32 v135, v135, v139
	v_fmac_f32_e32 v138, 0x3df6dbef, v55
	v_mul_f32_e32 v139, 0x3df6dbef, v56
	v_add_f32_e32 v137, v137, v141
	v_mov_b32_e32 v141, v58
	v_mul_f32_e32 v56, 0x3f62ad3f, v56
	v_add_f32_e32 v136, v136, v140
	v_add_f32_e32 v138, v138, v142
	v_mov_b32_e32 v140, v139
	v_fmac_f32_e32 v141, 0x3f62ad3f, v55
	v_mov_b32_e32 v142, v56
	v_fma_f32 v55, v55, s12, -v58
	v_sub_f32_e32 v58, v62, v130
	v_fmac_f32_e32 v140, 0xbf7e222b, v57
	v_fmac_f32_e32 v139, 0x3f7e222b, v57
	;; [unrolled: 1-line block ×3, first 2 shown]
	v_add_f32_e32 v53, v55, v53
	v_fmac_f32_e32 v56, 0x3eedf032, v57
	v_add_f32_e32 v55, v129, v61
	v_sub_f32_e32 v57, v61, v129
	v_mul_f32_e32 v61, 0xbf7e222b, v58
	v_add_f32_e32 v54, v56, v54
	v_add_f32_e32 v56, v130, v62
	v_mov_b32_e32 v62, v61
	v_fmac_f32_e32 v62, 0x3df6dbef, v55
	v_add_f32_e32 v62, v62, v115
	v_mul_f32_e32 v115, 0x3df6dbef, v56
	v_mov_b32_e32 v129, v115
	v_fma_f32 v61, v55, s4, -v61
	v_fmac_f32_e32 v115, 0xbf7e222b, v57
	v_add_f32_e32 v61, v61, v63
	v_add_f32_e32 v63, v115, v116
	v_mul_f32_e32 v115, 0xbe750f2a, v58
	v_mov_b32_e32 v116, v115
	v_fmac_f32_e32 v116, 0xbf788fa5, v55
	v_fmac_f32_e32 v129, 0x3f7e222b, v57
	v_add_f32_e32 v116, v116, v119
	v_mul_f32_e32 v119, 0xbf788fa5, v56
	v_add_f32_e32 v121, v129, v121
	v_mov_b32_e32 v129, v119
	v_fma_f32 v115, v55, s15, -v115
	v_fmac_f32_e32 v119, 0xbe750f2a, v57
	v_add_f32_e32 v115, v115, v117
	v_add_f32_e32 v117, v119, v122
	v_mul_f32_e32 v119, 0x3f6f5d39, v58
	v_mov_b32_e32 v122, v119
	v_fmac_f32_e32 v122, 0xbeb58ec6, v55
	v_fmac_f32_e32 v129, 0x3e750f2a, v57
	v_add_f32_e32 v122, v122, v125
	v_mul_f32_e32 v125, 0xbeb58ec6, v56
	v_add_f32_e32 v126, v129, v126
	v_mov_b32_e32 v129, v125
	v_fma_f32 v119, v55, s13, -v119
	v_fmac_f32_e32 v125, 0x3f6f5d39, v57
	v_add_f32_e32 v119, v119, v124
	v_add_f32_e32 v124, v125, v131
	v_mul_f32_e32 v125, 0x3eedf032, v58
	v_mov_b32_e32 v130, v125
	v_fma_f32 v125, v55, s12, -v125
	v_fmac_f32_e32 v129, 0xbf6f5d39, v57
	v_fmac_f32_e32 v130, 0x3f62ad3f, v55
	v_mul_f32_e32 v131, 0x3f62ad3f, v56
	v_add_f32_e32 v125, v125, v133
	v_mul_f32_e32 v133, 0xbf52af12, v58
	v_add_f32_e32 v129, v129, v132
	v_add_f32_e32 v130, v130, v134
	v_mov_b32_e32 v132, v131
	v_fmac_f32_e32 v131, 0x3eedf032, v57
	v_mov_b32_e32 v134, v133
	v_fma_f32 v133, v55, s5, -v133
	v_mul_f32_e32 v58, 0xbf29c268, v58
	v_fmac_f32_e32 v132, 0xbeedf032, v57
	v_add_f32_e32 v131, v131, v135
	v_fmac_f32_e32 v134, 0x3f116cb1, v55
	v_mul_f32_e32 v135, 0x3f116cb1, v56
	v_add_f32_e32 v133, v133, v137
	v_mov_b32_e32 v137, v58
	v_mul_f32_e32 v56, 0xbf3f9e67, v56
	v_add_f32_e32 v132, v132, v136
	v_add_f32_e32 v134, v134, v138
	v_mov_b32_e32 v136, v135
	v_fmac_f32_e32 v137, 0xbf3f9e67, v55
	v_mov_b32_e32 v138, v56
	v_fma_f32 v55, v55, s14, -v58
	v_sub_f32_e32 v58, v60, v128
	v_fmac_f32_e32 v136, 0x3f52af12, v57
	v_fmac_f32_e32 v135, 0xbf52af12, v57
	;; [unrolled: 1-line block ×3, first 2 shown]
	v_add_f32_e32 v53, v55, v53
	v_fmac_f32_e32 v56, 0xbf29c268, v57
	v_add_f32_e32 v55, v127, v59
	v_sub_f32_e32 v57, v59, v127
	v_mul_f32_e32 v59, 0xbf6f5d39, v58
	v_add_f32_e32 v54, v56, v54
	v_add_f32_e32 v56, v128, v60
	v_mov_b32_e32 v60, v59
	v_fmac_f32_e32 v60, 0xbeb58ec6, v55
	v_add_f32_e32 v60, v60, v62
	v_mul_f32_e32 v62, 0xbeb58ec6, v56
	v_mov_b32_e32 v127, v62
	v_fma_f32 v59, v55, s13, -v59
	v_fmac_f32_e32 v62, 0xbf6f5d39, v57
	v_add_f32_e32 v59, v59, v61
	v_add_f32_e32 v61, v62, v63
	v_mul_f32_e32 v62, 0x3f29c268, v58
	v_mov_b32_e32 v63, v62
	v_fmac_f32_e32 v63, 0xbf3f9e67, v55
	v_fmac_f32_e32 v127, 0x3f6f5d39, v57
	v_add_f32_e32 v63, v63, v116
	v_mul_f32_e32 v116, 0xbf3f9e67, v56
	v_add_f32_e32 v121, v127, v121
	v_mov_b32_e32 v127, v116
	v_fma_f32 v62, v55, s14, -v62
	v_fmac_f32_e32 v116, 0x3f29c268, v57
	v_add_f32_e32 v62, v62, v115
	v_add_f32_e32 v115, v116, v117
	v_mul_f32_e32 v116, 0x3eedf032, v58
	v_mov_b32_e32 v117, v116
	v_fmac_f32_e32 v117, 0x3f62ad3f, v55
	v_fmac_f32_e32 v127, 0xbf29c268, v57
	v_add_f32_e32 v117, v117, v122
	v_mul_f32_e32 v122, 0x3f62ad3f, v56
	v_add_f32_e32 v126, v127, v126
	v_mov_b32_e32 v127, v122
	v_fma_f32 v116, v55, s12, -v116
	v_fmac_f32_e32 v122, 0x3eedf032, v57
	v_fmac_f32_e32 v127, 0xbeedf032, v57
	v_add_f32_e32 v116, v116, v119
	v_add_f32_e32 v119, v122, v124
	v_mul_f32_e32 v122, 0xbf7e222b, v58
	v_mul_f32_e32 v128, 0x3df6dbef, v56
	v_add_f32_e32 v127, v127, v129
	v_mov_b32_e32 v124, v122
	v_mov_b32_e32 v129, v128
	v_fma_f32 v122, v55, s4, -v122
	v_fmac_f32_e32 v128, 0xbf7e222b, v57
	v_fmac_f32_e32 v124, 0x3df6dbef, v55
	v_add_f32_e32 v122, v122, v125
	v_add_f32_e32 v125, v128, v131
	v_mul_f32_e32 v128, 0x3e750f2a, v58
	v_add_f32_e32 v124, v124, v130
	v_mov_b32_e32 v130, v128
	v_fma_f32 v128, v55, s15, -v128
	v_mul_f32_e32 v58, 0x3f52af12, v58
	v_fmac_f32_e32 v129, 0x3f7e222b, v57
	v_fmac_f32_e32 v130, 0xbf788fa5, v55
	v_mul_f32_e32 v131, 0xbf788fa5, v56
	v_add_f32_e32 v128, v128, v133
	v_mov_b32_e32 v133, v58
	v_mul_f32_e32 v56, 0x3f116cb1, v56
	v_add_f32_e32 v129, v129, v132
	v_add_f32_e32 v130, v130, v134
	v_mov_b32_e32 v132, v131
	v_fmac_f32_e32 v133, 0x3f116cb1, v55
	v_mov_b32_e32 v134, v56
	v_fma_f32 v55, v55, s5, -v58
	v_sub_f32_e32 v58, v67, v73
	v_fmac_f32_e32 v132, 0xbe750f2a, v57
	v_fmac_f32_e32 v131, 0x3e750f2a, v57
	;; [unrolled: 1-line block ×3, first 2 shown]
	v_add_f32_e32 v53, v55, v53
	v_fmac_f32_e32 v56, 0x3f52af12, v57
	v_add_f32_e32 v55, v72, v66
	v_sub_f32_e32 v57, v66, v72
	v_mul_f32_e32 v66, 0xbf29c268, v58
	v_add_f32_e32 v54, v56, v54
	v_add_f32_e32 v56, v73, v67
	v_mov_b32_e32 v67, v66
	v_fmac_f32_e32 v67, 0xbf3f9e67, v55
	v_add_f32_e32 v60, v67, v60
	v_mul_f32_e32 v67, 0xbf3f9e67, v56
	v_fma_f32 v66, v55, s14, -v66
	v_mov_b32_e32 v72, v67
	v_add_f32_e32 v59, v66, v59
	v_fmac_f32_e32 v67, 0xbf29c268, v57
	v_mul_f32_e32 v66, 0x3f7e222b, v58
	v_add_f32_e32 v61, v67, v61
	v_mov_b32_e32 v67, v66
	v_fmac_f32_e32 v67, 0x3df6dbef, v55
	v_add_f32_e32 v63, v67, v63
	v_mul_f32_e32 v67, 0x3df6dbef, v56
	v_mov_b32_e32 v73, v67
	v_fma_f32 v66, v55, s4, -v66
	v_fmac_f32_e32 v67, 0x3f7e222b, v57
	v_add_f32_e32 v62, v66, v62
	v_add_f32_e32 v66, v67, v115
	v_mul_f32_e32 v67, 0xbf52af12, v58
	v_mov_b32_e32 v115, v67
	v_fmac_f32_e32 v115, 0x3f116cb1, v55
	v_fmac_f32_e32 v72, 0x3f29c268, v57
	v_add_f32_e32 v117, v115, v117
	v_mul_f32_e32 v115, 0x3f116cb1, v56
	v_add_f32_e32 v72, v72, v121
	v_mov_b32_e32 v121, v115
	v_fmac_f32_e32 v115, 0xbf52af12, v57
	v_fma_f32 v67, v55, s5, -v67
	v_add_f32_e32 v119, v115, v119
	v_mul_f32_e32 v115, 0x3e750f2a, v58
	v_add_f32_e32 v67, v67, v116
	v_mov_b32_e32 v116, v115
	v_fmac_f32_e32 v116, 0xbf788fa5, v55
	v_fmac_f32_e32 v73, 0xbf7e222b, v57
	v_add_f32_e32 v124, v116, v124
	v_mul_f32_e32 v116, 0xbf788fa5, v56
	v_fma_f32 v115, v55, s15, -v115
	v_add_f32_e32 v73, v73, v126
	v_mov_b32_e32 v126, v116
	v_add_f32_e32 v122, v115, v122
	v_fmac_f32_e32 v116, 0x3e750f2a, v57
	v_mul_f32_e32 v115, 0x3eedf032, v58
	v_add_f32_e32 v125, v116, v125
	v_mov_b32_e32 v116, v115
	v_add_f32_e32 v139, v139, v143
	v_add_f32_e32 v141, v141, v145
	;; [unrolled: 1-line block ×3, first 2 shown]
	v_fmac_f32_e32 v121, 0x3f52af12, v57
	v_fmac_f32_e32 v116, 0x3f62ad3f, v55
	v_fma_f32 v115, v55, s12, -v115
	v_mul_f32_e32 v58, 0xbf6f5d39, v58
	v_add_f32_e32 v135, v135, v139
	v_add_f32_e32 v137, v137, v141
	;; [unrolled: 1-line block ×4, first 2 shown]
	v_fmac_f32_e32 v126, 0xbe750f2a, v57
	v_add_f32_e32 v127, v116, v130
	v_mul_f32_e32 v116, 0x3f62ad3f, v56
	v_add_f32_e32 v128, v115, v128
	v_mov_b32_e32 v115, v58
	v_add_f32_e32 v140, v140, v144
	v_add_f32_e32 v131, v131, v135
	;; [unrolled: 1-line block ×5, first 2 shown]
	v_mov_b32_e32 v129, v116
	v_fmac_f32_e32 v116, 0x3eedf032, v57
	v_fmac_f32_e32 v115, 0xbeb58ec6, v55
	v_mul_f32_e32 v56, 0xbeb58ec6, v56
	v_fma_f32 v55, v55, s13, -v58
	v_sub_f32_e32 v138, v69, v71
	v_add_f32_e32 v136, v136, v140
	v_add_f32_e32 v130, v116, v131
	v_add_f32_e32 v131, v115, v133
	v_mov_b32_e32 v115, v56
	v_add_f32_e32 v133, v55, v53
	v_add_f32_e32 v135, v70, v68
	v_mul_f32_e32 v55, 0xbe750f2a, v138
	v_add_f32_e32 v132, v132, v136
	v_fmac_f32_e32 v129, 0xbeedf032, v57
	v_fmac_f32_e32 v115, 0x3f6f5d39, v57
	;; [unrolled: 1-line block ×3, first 2 shown]
	v_add_f32_e32 v136, v71, v69
	v_mov_b32_e32 v53, v55
	v_fma_f32 v55, v135, s15, -v55
	v_mul_f32_e32 v57, 0x3eedf032, v138
	v_add_f32_e32 v129, v129, v132
	v_add_f32_e32 v132, v115, v134
	;; [unrolled: 1-line block ×3, first 2 shown]
	v_sub_f32_e32 v137, v68, v70
	v_mul_f32_e32 v56, 0xbf788fa5, v136
	v_add_f32_e32 v115, v55, v59
	v_mov_b32_e32 v55, v57
	v_mov_b32_e32 v54, v56
	v_fmac_f32_e32 v56, 0xbe750f2a, v137
	v_fmac_f32_e32 v55, 0x3f62ad3f, v135
	v_mul_f32_e32 v58, 0x3f62ad3f, v136
	v_add_f32_e32 v116, v56, v61
	v_add_f32_e32 v55, v55, v63
	v_mov_b32_e32 v56, v58
	v_fmac_f32_e32 v58, 0x3eedf032, v137
	v_mul_f32_e32 v63, 0x3f52af12, v138
	v_add_f32_e32 v58, v58, v66
	v_mov_b32_e32 v66, v63
	v_fma_f32 v63, v135, s5, -v63
	v_mul_f32_e32 v61, 0xbf29c268, v138
	v_add_f32_e32 v68, v63, v122
	v_mul_f32_e32 v63, 0xbf6f5d39, v138
	v_fmac_f32_e32 v54, 0x3e750f2a, v137
	v_fma_f32 v57, v135, s12, -v57
	v_mov_b32_e32 v59, v61
	v_mov_b32_e32 v70, v63
	v_fma_f32 v63, v135, s13, -v63
	v_fmac_f32_e32 v53, 0xbf788fa5, v135
	v_add_f32_e32 v54, v54, v72
	v_add_f32_e32 v57, v57, v62
	v_fmac_f32_e32 v59, 0xbf3f9e67, v135
	v_mul_f32_e32 v62, 0xbf3f9e67, v136
	v_add_f32_e32 v72, v63, v128
	v_mul_f32_e32 v63, 0x3f7e222b, v138
	v_add_f32_e32 v53, v53, v60
	v_fmac_f32_e32 v56, 0xbeedf032, v137
	v_add_f32_e32 v59, v59, v117
	v_mov_b32_e32 v60, v62
	v_mov_b32_e32 v117, v63
	v_add_f32_e32 v56, v56, v73
	v_fmac_f32_e32 v60, 0x3f29c268, v137
	v_fma_f32 v61, v135, s14, -v61
	v_mul_f32_e32 v69, 0x3f116cb1, v136
	v_mul_f32_e32 v73, 0xbeb58ec6, v136
	v_fmac_f32_e32 v117, 0x3df6dbef, v135
	v_add_f32_e32 v60, v60, v121
	v_add_f32_e32 v61, v61, v67
	v_fmac_f32_e32 v62, 0xbf29c268, v137
	v_mov_b32_e32 v67, v69
	v_mov_b32_e32 v71, v73
	v_add_f32_e32 v121, v117, v131
	v_mul_f32_e32 v117, 0x3df6dbef, v136
	v_add_f32_e32 v62, v62, v119
	v_fmac_f32_e32 v66, 0x3f116cb1, v135
	v_fmac_f32_e32 v67, 0xbf52af12, v137
	;; [unrolled: 1-line block ×6, first 2 shown]
	v_mov_b32_e32 v119, v117
	v_add_f32_e32 v66, v66, v124
	v_add_f32_e32 v67, v67, v126
	;; [unrolled: 1-line block ×6, first 2 shown]
	v_fmac_f32_e32 v119, 0xbf7e222b, v137
	v_fma_f32 v63, v135, s4, -v63
	v_fmac_f32_e32 v117, 0x3f7e222b, v137
	v_add_f32_e32 v122, v119, v132
	v_add_f32_e32 v124, v63, v133
	;; [unrolled: 1-line block ×3, first 2 shown]
	s_barrier
	ds_write2_b64 v123, v[74:75], v[53:54] offset1:1
	ds_write2_b64 v123, v[55:56], v[59:60] offset0:2 offset1:3
	ds_write2_b64 v123, v[66:67], v[70:71] offset0:4 offset1:5
	;; [unrolled: 1-line block ×5, first 2 shown]
	ds_write_b64 v123, v[115:116] offset:96
	s_waitcnt lgkmcnt(0)
	s_barrier
	ds_read2_b64 v[60:63], v118 offset1:68
	ds_read2_b64 v[56:59], v118 offset0:136 offset1:221
	ds_read2_b64 v[72:75], v64 offset0:186 offset1:254
	ds_read2_b64 v[52:55], v52 offset0:66 offset1:151
	ds_read2_b64 v[68:71], v64 offset0:33 offset1:101
	ds_read2_b64 v[64:67], v65 offset0:91 offset1:159
	s_and_saveexec_b64 s[4:5], s[0:1]
	s_cbranch_execz .LBB0_11
; %bb.10:
	v_add_u32_e32 v48, 0xd00, v118
	ds_read2_b64 v[48:51], v48 offset0:9 offset1:230
	ds_read_b64 v[115:116], v120 offset:1632
	ds_read_b64 v[78:79], v118 offset:6936
.LBB0_11:
	s_or_b64 exec, exec, s[4:5]
	s_waitcnt lgkmcnt(4)
	v_mul_f32_e32 v117, v29, v59
	v_mul_f32_e32 v29, v29, v58
	v_fmac_f32_e32 v117, v28, v58
	v_fma_f32 v28, v28, v59, -v29
	s_waitcnt lgkmcnt(3)
	v_mul_f32_e32 v29, v31, v73
	v_mul_f32_e32 v31, v31, v72
	s_waitcnt lgkmcnt(1)
	v_mul_f32_e32 v58, v21, v69
	v_mul_f32_e32 v21, v21, v68
	v_fmac_f32_e32 v29, v30, v72
	v_fma_f32 v30, v30, v73, -v31
	v_mul_f32_e32 v31, v114, v55
	v_fmac_f32_e32 v58, v20, v68
	v_fma_f32 v20, v20, v69, -v21
	v_mul_f32_e32 v21, v23, v75
	v_mul_f32_e32 v23, v23, v74
	v_fmac_f32_e32 v31, v113, v54
	v_mul_f32_e32 v54, v114, v54
	v_fmac_f32_e32 v21, v22, v74
	v_fma_f32 v22, v22, v75, -v23
	s_waitcnt lgkmcnt(0)
	v_mul_f32_e32 v23, v112, v65
	v_fma_f32 v54, v113, v55, -v54
	v_fmac_f32_e32 v23, v111, v64
	v_mul_f32_e32 v55, v112, v64
	v_mul_f32_e32 v64, v17, v71
	;; [unrolled: 1-line block ×3, first 2 shown]
	v_fma_f32 v59, v111, v65, -v55
	v_fmac_f32_e32 v64, v16, v70
	v_fma_f32 v65, v16, v71, -v17
	v_mul_f32_e32 v16, v19, v52
	v_fma_f32 v69, v18, v53, -v16
	v_mul_f32_e32 v70, v110, v67
	v_mul_f32_e32 v16, v110, v66
	v_fmac_f32_e32 v70, v109, v66
	v_fma_f32 v66, v109, v67, -v16
	v_mul_f32_e32 v67, v5, v49
	v_mul_f32_e32 v5, v5, v48
	v_fmac_f32_e32 v67, v4, v48
	v_fma_f32 v71, v4, v49, -v5
	v_mul_f32_e32 v72, v7, v51
	v_mul_f32_e32 v4, v7, v50
	v_sub_f32_e32 v7, v61, v30
	v_sub_f32_e32 v17, v28, v54
	v_mul_f32_e32 v68, v19, v53
	v_fmac_f32_e32 v72, v6, v50
	v_fma_f32 v73, v6, v51, -v4
	v_mul_f32_e32 v4, v108, v78
	v_sub_f32_e32 v6, v60, v29
	v_fma_f32 v5, v61, 2.0, -v7
	v_sub_f32_e32 v16, v117, v31
	v_fma_f32 v19, v28, 2.0, -v17
	v_sub_f32_e32 v22, v63, v22
	v_sub_f32_e32 v30, v20, v59
	v_fmac_f32_e32 v68, v18, v52
	v_fma_f32 v75, v107, v79, -v4
	v_fma_f32 v4, v60, 2.0, -v6
	v_fma_f32 v18, v117, 2.0, -v16
	v_sub_f32_e32 v53, v5, v19
	v_add_f32_e32 v54, v6, v17
	v_sub_f32_e32 v21, v62, v21
	v_fma_f32 v19, v63, 2.0, -v22
	v_sub_f32_e32 v23, v58, v23
	v_fma_f32 v17, v20, 2.0, -v30
	v_mul_f32_e32 v74, v108, v79
	v_sub_f32_e32 v52, v4, v18
	v_sub_f32_e32 v55, v7, v16
	v_fma_f32 v18, v62, 2.0, -v21
	v_fma_f32 v16, v58, 2.0, -v23
	v_sub_f32_e32 v17, v19, v17
	v_fmac_f32_e32 v74, v107, v78
	v_sub_f32_e32 v16, v18, v16
	v_fma_f32 v29, v19, 2.0, -v17
	v_sub_f32_e32 v19, v22, v23
	v_fma_f32 v28, v18, 2.0, -v16
	v_add_f32_e32 v18, v21, v30
	v_fma_f32 v31, v22, 2.0, -v19
	v_sub_f32_e32 v22, v56, v68
	v_sub_f32_e32 v23, v57, v69
	;; [unrolled: 1-line block ×8, first 2 shown]
	v_fma_f32 v30, v21, 2.0, -v18
	v_fma_f32 v20, v56, 2.0, -v22
	;; [unrolled: 1-line block ×9, first 2 shown]
	v_sub_f32_e32 v48, v20, v48
	v_sub_f32_e32 v49, v21, v49
	v_add_f32_e32 v50, v22, v50
	v_sub_f32_e32 v51, v23, v51
	v_sub_f32_e32 v60, v56, v60
	;; [unrolled: 1-line block ×3, first 2 shown]
	v_add_f32_e32 v62, v58, v62
	v_sub_f32_e32 v63, v59, v63
	v_fma_f32 v4, v4, 2.0, -v52
	v_fma_f32 v5, v5, 2.0, -v53
	;; [unrolled: 1-line block ×12, first 2 shown]
	s_barrier
	ds_write2_b64 v165, v[4:5], v[6:7] offset1:13
	ds_write2_b64 v165, v[52:53], v[54:55] offset0:26 offset1:39
	ds_write2_b64 v166, v[28:29], v[30:31] offset1:13
	ds_write2_b64 v166, v[16:17], v[18:19] offset0:26 offset1:39
	;; [unrolled: 2-line block ×3, first 2 shown]
	s_and_saveexec_b64 s[4:5], s[0:1]
	s_cbranch_execz .LBB0_13
; %bb.12:
	v_mad_legacy_u16 v64, v160, 52, v163
	v_lshl_add_u32 v64, v64, 3, v159
	ds_write2_b64 v64, v[56:57], v[58:59] offset1:13
	ds_write2_b64 v64, v[60:61], v[62:63] offset0:26 offset1:39
.LBB0_13:
	s_or_b64 exec, exec, s[4:5]
	s_waitcnt lgkmcnt(0)
	s_barrier
	s_and_saveexec_b64 s[0:1], s[2:3]
	s_cbranch_execz .LBB0_15
; %bb.14:
	v_add_u32_e32 v16, 0x400, v118
	v_add_u32_e32 v20, 0x800, v118
	;; [unrolled: 1-line block ×4, first 2 shown]
	ds_read2_b64 v[4:7], v118 offset1:52
	ds_read2_b64 v[52:55], v118 offset0:104 offset1:156
	ds_read2_b64 v[28:31], v16 offset0:80 offset1:132
	;; [unrolled: 1-line block ×7, first 2 shown]
	ds_read_b64 v[76:77], v118 offset:6656
.LBB0_15:
	s_or_b64 exec, exec, s[0:1]
	s_and_saveexec_b64 s[0:1], s[2:3]
	s_cbranch_execz .LBB0_17
; %bb.16:
	s_waitcnt lgkmcnt(8)
	v_mul_f32_e32 v66, v37, v7
	s_waitcnt lgkmcnt(0)
	v_mul_f32_e32 v65, v47, v77
	v_mul_f32_e32 v47, v47, v76
	v_fmac_f32_e32 v66, v36, v6
	v_fmac_f32_e32 v65, v46, v76
	v_fma_f32 v47, v46, v77, -v47
	v_mul_f32_e32 v6, v37, v6
	v_mul_f32_e32 v67, v39, v53
	;; [unrolled: 1-line block ×3, first 2 shown]
	v_sub_f32_e32 v64, v66, v65
	v_fma_f32 v68, v36, v7, -v6
	v_fmac_f32_e32 v67, v38, v52
	v_fmac_f32_e32 v46, v44, v62
	v_mul_f32_e32 v7, v45, v62
	v_mul_f32_e32 v78, 0xbf65296c, v64
	v_sub_f32_e32 v36, v67, v46
	v_fma_f32 v44, v44, v63, -v7
	v_mul_f32_e32 v7, v39, v52
	v_add_f32_e32 v69, v47, v68
	v_mov_b32_e32 v6, v78
	v_mul_f32_e32 v108, 0xbf4c4adb, v36
	v_fma_f32 v45, v38, v53, -v7
	v_fmac_f32_e32 v6, 0x3ee437d1, v69
	v_add_f32_e32 v62, v44, v45
	v_mov_b32_e32 v7, v108
	v_add_f32_e32 v6, v5, v6
	v_fmac_f32_e32 v7, 0xbf1a4643, v62
	v_mul_f32_e32 v39, v25, v55
	v_mul_f32_e32 v38, v43, v61
	v_add_f32_e32 v6, v7, v6
	v_fmac_f32_e32 v39, v24, v54
	v_fmac_f32_e32 v38, v42, v60
	v_mul_f32_e32 v7, v43, v60
	v_sub_f32_e32 v37, v39, v38
	v_fma_f32 v43, v42, v61, -v7
	v_mul_f32_e32 v7, v25, v54
	v_mul_f32_e32 v109, 0x3e3c28d5, v37
	v_fma_f32 v53, v24, v55, -v7
	v_add_f32_e32 v55, v43, v53
	v_mov_b32_e32 v7, v109
	v_fmac_f32_e32 v7, 0xbf7ba420, v55
	v_mul_f32_e32 v52, v27, v29
	v_mul_f32_e32 v42, v41, v59
	v_add_f32_e32 v6, v7, v6
	v_fmac_f32_e32 v52, v26, v28
	v_fmac_f32_e32 v42, v40, v58
	v_mul_f32_e32 v7, v41, v58
	v_sub_f32_e32 v24, v52, v42
	v_fma_f32 v40, v40, v59, -v7
	v_mul_f32_e32 v7, v27, v28
	v_mul_f32_e32 v110, 0x3f763a35, v24
	v_fma_f32 v54, v26, v29, -v7
	v_add_f32_e32 v58, v40, v54
	v_mov_b32_e32 v7, v110
	v_fmac_f32_e32 v7, 0xbe8c1d8e, v58
	v_mul_f32_e32 v41, v9, v31
	v_mul_f32_e32 v29, v35, v57
	v_add_f32_e32 v6, v7, v6
	v_fmac_f32_e32 v41, v8, v30
	v_fmac_f32_e32 v29, v34, v56
	v_mul_f32_e32 v7, v35, v56
	v_sub_f32_e32 v25, v41, v29
	v_fma_f32 v34, v34, v57, -v7
	v_mul_f32_e32 v7, v9, v30
	v_mul_f32_e32 v111, 0x3f2c7751, v25
	v_fma_f32 v35, v8, v31, -v7
	v_add_f32_e32 v61, v34, v35
	v_mov_b32_e32 v7, v111
	v_fmac_f32_e32 v7, 0x3f3d2fb0, v61
	v_mul_f32_e32 v31, v11, v17
	v_mul_f32_e32 v30, v33, v51
	v_add_f32_e32 v6, v7, v6
	v_fmac_f32_e32 v31, v10, v16
	v_fmac_f32_e32 v30, v32, v50
	v_mul_f32_e32 v7, v33, v50
	v_sub_f32_e32 v26, v31, v30
	v_fma_f32 v50, v32, v51, -v7
	v_mul_f32_e32 v7, v11, v16
	v_mul_f32_e32 v112, 0xbeb8f4ab, v26
	v_fma_f32 v51, v10, v17, -v7
	v_add_f32_e32 v63, v50, v51
	v_mov_b32_e32 v7, v112
	v_fmac_f32_e32 v7, 0x3f6eb680, v63
	v_add_f32_e32 v6, v7, v6
	v_mul_f32_e32 v32, v1, v19
	v_mul_f32_e32 v33, v15, v49
	v_mul_f32_e32 v7, v15, v48
	v_fmac_f32_e32 v32, v0, v18
	v_fmac_f32_e32 v33, v14, v48
	v_fma_f32 v56, v14, v49, -v7
	v_mul_f32_e32 v1, v1, v18
	v_mul_f32_e32 v48, v3, v21
	;; [unrolled: 1-line block ×3, first 2 shown]
	v_sub_f32_e32 v16, v32, v33
	v_fma_f32 v57, v0, v19, -v1
	v_fmac_f32_e32 v48, v2, v20
	v_fmac_f32_e32 v49, v12, v22
	v_mul_f32_e32 v1, v13, v22
	v_mul_f32_e32 v113, 0xbf7ee86f, v16
	v_sub_f32_e32 v17, v48, v49
	v_fma_f32 v59, v12, v23, -v1
	v_mul_f32_e32 v1, v3, v20
	v_add_f32_e32 v70, v56, v57
	v_mov_b32_e32 v0, v113
	v_mul_f32_e32 v116, 0xbf06c442, v17
	v_fma_f32 v60, v2, v21, -v1
	v_fmac_f32_e32 v0, 0x3dbcf732, v70
	v_add_f32_e32 v71, v59, v60
	v_mov_b32_e32 v1, v116
	v_sub_f32_e32 v72, v68, v47
	s_mov_b32 s2, 0x3ee437d1
	v_add_f32_e32 v0, v0, v6
	v_fmac_f32_e32 v1, 0xbf59a7d5, v71
	v_add_f32_e32 v18, v65, v66
	v_mul_f32_e32 v117, 0xbf65296c, v72
	v_sub_f32_e32 v73, v45, v44
	s_mov_b32 s3, 0xbf1a4643
	v_add_f32_e32 v1, v1, v0
	v_fma_f32 v0, v18, s2, -v117
	v_add_f32_e32 v19, v46, v67
	v_mul_f32_e32 v119, 0xbf4c4adb, v73
	v_sub_f32_e32 v74, v53, v43
	s_mov_b32 s4, 0xbf7ba420
	v_add_f32_e32 v0, v4, v0
	v_fma_f32 v2, v19, s3, -v119
	;; [unrolled: 6-line block ×7, first 2 shown]
	v_add_f32_e32 v28, v49, v48
	v_mul_f32_e32 v130, 0xbf06c442, v107
	v_add_f32_e32 v0, v2, v0
	v_fma_f32 v2, v28, s15, -v130
	v_mul_f32_e32 v123, 0xbf7ee86f, v64
	v_add_f32_e32 v0, v2, v0
	v_mov_b32_e32 v2, v123
	v_mul_f32_e32 v124, 0xbe3c28d5, v36
	v_fmac_f32_e32 v2, 0x3dbcf732, v69
	v_mov_b32_e32 v3, v124
	v_add_f32_e32 v2, v5, v2
	v_fmac_f32_e32 v3, 0xbf7ba420, v62
	v_mul_f32_e32 v131, 0x3f763a35, v37
	v_add_f32_e32 v2, v3, v2
	v_mov_b32_e32 v3, v131
	v_fmac_f32_e32 v3, 0xbe8c1d8e, v55
	v_mul_f32_e32 v132, 0x3eb8f4ab, v24
	v_add_f32_e32 v2, v3, v2
	v_mov_b32_e32 v3, v132
	;; [unrolled: 4-line block ×6, first 2 shown]
	v_fmac_f32_e32 v3, 0x3f3d2fb0, v71
	v_mul_f32_e32 v137, 0xbf7ee86f, v72
	v_add_f32_e32 v3, v3, v2
	v_fma_f32 v2, v18, s14, -v137
	v_mul_f32_e32 v138, 0xbe3c28d5, v73
	v_add_f32_e32 v2, v4, v2
	v_fma_f32 v6, v19, s4, -v138
	;; [unrolled: 3-line block ×8, first 2 shown]
	v_mul_f32_e32 v121, 0xbf763a35, v64
	v_add_f32_e32 v2, v6, v2
	v_mov_b32_e32 v6, v121
	v_mul_f32_e32 v122, 0x3f06c442, v36
	v_fmac_f32_e32 v6, 0xbe8c1d8e, v69
	v_mov_b32_e32 v7, v122
	v_fma_f32 v78, v69, s2, -v78
	v_add_f32_e32 v6, v5, v6
	v_fmac_f32_e32 v7, 0xbf59a7d5, v62
	v_mul_f32_e32 v145, 0x3f2c7751, v37
	v_add_f32_e32 v78, v5, v78
	v_fma_f32 v108, v62, s3, -v108
	v_add_f32_e32 v6, v7, v6
	v_mov_b32_e32 v7, v145
	v_add_f32_e32 v78, v108, v78
	v_fma_f32 v108, v55, s4, -v109
	v_fmac_f32_e32 v7, 0x3f3d2fb0, v55
	v_mul_f32_e32 v146, 0xbf65296c, v24
	v_add_f32_e32 v78, v108, v78
	v_fma_f32 v108, v58, s5, -v110
	v_add_f32_e32 v6, v7, v6
	v_mov_b32_e32 v7, v146
	v_add_f32_e32 v78, v108, v78
	v_fma_f32 v108, v61, s12, -v111
	;; [unrolled: 8-line block ×3, first 2 shown]
	v_fmac_f32_e32 v7, 0xbf7ba420, v61
	v_mul_f32_e32 v148, 0x3f7ee86f, v26
	v_add_f32_e32 v78, v108, v78
	v_fma_f32 v108, v71, s15, -v116
	v_fmac_f32_e32 v117, 0x3ee437d1, v18
	v_add_f32_e32 v6, v7, v6
	v_mov_b32_e32 v7, v148
	v_add_f32_e32 v109, v108, v78
	v_add_f32_e32 v78, v4, v117
	v_fmac_f32_e32 v119, 0xbf1a4643, v19
	v_fmac_f32_e32 v7, 0x3dbcf732, v63
	v_mul_f32_e32 v149, 0xbeb8f4ab, v16
	v_add_f32_e32 v78, v119, v78
	v_fmac_f32_e32 v125, 0xbf7ba420, v20
	v_add_f32_e32 v6, v7, v6
	v_mov_b32_e32 v7, v149
	v_add_f32_e32 v78, v125, v78
	v_fmac_f32_e32 v126, 0xbe8c1d8e, v21
	v_fmac_f32_e32 v7, 0x3f6eb680, v70
	v_mul_f32_e32 v150, 0xbf4c4adb, v17
	v_add_f32_e32 v78, v126, v78
	v_fmac_f32_e32 v127, 0x3f3d2fb0, v22
	v_add_f32_e32 v6, v7, v6
	v_mov_b32_e32 v7, v150
	v_add_f32_e32 v78, v127, v78
	v_fmac_f32_e32 v128, 0x3f6eb680, v23
	v_fmac_f32_e32 v7, 0xbf1a4643, v71
	v_mul_f32_e32 v151, 0xbf763a35, v72
	v_add_f32_e32 v78, v128, v78
	v_fmac_f32_e32 v129, 0x3dbcf732, v27
	v_add_f32_e32 v7, v7, v6
	v_fma_f32 v6, v18, s5, -v151
	v_mul_f32_e32 v152, 0x3f06c442, v73
	v_add_f32_e32 v78, v129, v78
	v_fmac_f32_e32 v130, 0xbf59a7d5, v28
	v_add_f32_e32 v6, v4, v6
	v_fma_f32 v8, v19, s15, -v152
	v_mul_f32_e32 v153, 0x3f2c7751, v74
	v_add_f32_e32 v108, v130, v78
	v_mul_f32_e32 v78, 0x3f3d2fb0, v69
	v_add_f32_e32 v6, v8, v6
	v_fma_f32 v8, v20, s12, -v153
	v_mul_f32_e32 v154, 0xbf65296c, v75
	v_mov_b32_e32 v110, v78
	v_mul_f32_e32 v112, 0x3dbcf732, v62
	v_add_f32_e32 v6, v8, v6
	v_fma_f32 v8, v21, s2, -v154
	v_mul_f32_e32 v155, 0xbe3c28d5, v76
	v_fmac_f32_e32 v110, 0x3f2c7751, v64
	v_mov_b32_e32 v111, v112
	v_add_f32_e32 v6, v8, v6
	v_fma_f32 v8, v22, s4, -v155
	v_mul_f32_e32 v156, 0x3f7ee86f, v77
	v_add_f32_e32 v110, v5, v110
	v_fmac_f32_e32 v111, 0x3f7ee86f, v36
	v_mul_f32_e32 v113, 0xbf1a4643, v55
	v_add_f32_e32 v6, v8, v6
	v_fma_f32 v8, v23, s14, -v156
	v_mul_f32_e32 v157, 0xbeb8f4ab, v79
	v_add_f32_e32 v110, v111, v110
	v_mov_b32_e32 v111, v113
	v_add_f32_e32 v6, v8, v6
	v_fma_f32 v8, v27, s13, -v157
	v_mul_f32_e32 v158, 0xbf4c4adb, v107
	v_fmac_f32_e32 v111, 0x3f4c4adb, v37
	v_mul_f32_e32 v116, 0xbf7ba420, v58
	v_add_f32_e32 v6, v8, v6
	v_fma_f32 v8, v28, s3, -v158
	v_mul_f32_e32 v14, 0xbf06c442, v64
	v_add_f32_e32 v110, v111, v110
	v_mov_b32_e32 v111, v116
	v_add_f32_e32 v6, v8, v6
	v_mov_b32_e32 v8, v14
	v_mul_f32_e32 v15, 0x3f65296c, v36
	v_fmac_f32_e32 v111, 0x3e3c28d5, v24
	v_mul_f32_e32 v117, 0xbf59a7d5, v61
	v_fmac_f32_e32 v8, 0xbf59a7d5, v69
	v_mov_b32_e32 v9, v15
	v_add_f32_e32 v110, v111, v110
	v_mov_b32_e32 v111, v117
	v_add_f32_e32 v8, v5, v8
	v_fmac_f32_e32 v9, 0x3ee437d1, v62
	v_mul_f32_e32 v114, 0xbf7ee86f, v37
	v_fmac_f32_e32 v111, 0xbf06c442, v25
	v_mul_f32_e32 v119, 0xbe8c1d8e, v63
	v_add_f32_e32 v8, v9, v8
	v_mov_b32_e32 v9, v114
	v_add_f32_e32 v110, v111, v110
	v_mov_b32_e32 v111, v119
	v_fmac_f32_e32 v9, 0x3dbcf732, v55
	v_mul_f32_e32 v115, 0x3f4c4adb, v24
	v_fmac_f32_e32 v111, 0xbf763a35, v26
	v_mul_f32_e32 v125, 0x3ee437d1, v70
	v_add_f32_e32 v68, v68, v5
	v_add_f32_e32 v8, v9, v8
	v_mov_b32_e32 v9, v115
	v_fma_f32 v14, v69, s15, -v14
	v_add_f32_e32 v110, v111, v110
	v_mov_b32_e32 v111, v125
	v_add_f32_e32 v45, v45, v68
	v_fmac_f32_e32 v9, 0xbf1a4643, v58
	v_mul_f32_e32 v159, 0xbeb8f4ab, v25
	v_add_f32_e32 v14, v5, v14
	v_fma_f32 v15, v62, s2, -v15
	v_fmac_f32_e32 v111, 0xbf65296c, v16
	v_mul_f32_e32 v126, 0x3f6eb680, v71
	v_add_f32_e32 v45, v53, v45
	v_add_f32_e32 v8, v9, v8
	v_mov_b32_e32 v9, v159
	v_add_f32_e32 v14, v15, v14
	v_fma_f32 v15, v55, s14, -v114
	v_add_f32_e32 v110, v111, v110
	v_mov_b32_e32 v111, v126
	v_add_f32_e32 v45, v54, v45
	v_fmac_f32_e32 v9, 0x3f6eb680, v61
	v_mul_f32_e32 v160, 0xbe3c28d5, v26
	v_add_f32_e32 v14, v15, v14
	v_fma_f32 v15, v58, s3, -v115
	v_fmac_f32_e32 v111, 0xbeb8f4ab, v17
	v_mul_f32_e32 v127, 0xbf2c7751, v72
	v_add_f32_e32 v35, v35, v45
	v_add_f32_e32 v8, v9, v8
	v_mov_b32_e32 v9, v160
	v_add_f32_e32 v14, v15, v14
	v_fma_f32 v15, v61, s13, -v159
	v_mul_f32_e32 v159, 0xbf1a4643, v69
	v_add_f32_e32 v111, v111, v110
	v_mov_b32_e32 v110, v127
	v_mul_f32_e32 v128, 0xbf7ee86f, v73
	v_add_f32_e32 v35, v51, v35
	v_fmac_f32_e32 v9, 0xbf7ba420, v63
	v_mul_f32_e32 v161, 0x3f2c7751, v16
	v_add_f32_e32 v14, v15, v14
	v_fma_f32 v15, v63, s4, -v160
	v_mov_b32_e32 v114, v159
	v_mul_f32_e32 v160, 0xbe8c1d8e, v62
	v_fmac_f32_e32 v110, 0x3f3d2fb0, v18
	v_mov_b32_e32 v129, v128
	v_add_f32_e32 v35, v57, v35
	v_add_f32_e32 v8, v9, v8
	v_mov_b32_e32 v9, v161
	v_fmac_f32_e32 v114, 0x3f4c4adb, v64
	v_mov_b32_e32 v115, v160
	v_add_f32_e32 v110, v4, v110
	v_fmac_f32_e32 v129, 0x3dbcf732, v19
	v_add_f32_e32 v35, v60, v35
	v_fmac_f32_e32 v9, 0x3f3d2fb0, v70
	v_mul_f32_e32 v162, 0xbf763a35, v17
	v_add_f32_e32 v14, v15, v14
	v_fma_f32 v15, v70, s12, -v161
	v_add_f32_e32 v114, v5, v114
	v_fmac_f32_e32 v115, 0xbf763a35, v36
	v_mul_f32_e32 v161, 0x3f6eb680, v55
	v_add_f32_e32 v110, v129, v110
	v_mul_f32_e32 v129, 0xbf4c4adb, v74
	v_add_f32_e32 v35, v59, v35
	v_add_f32_e32 v8, v9, v8
	v_mov_b32_e32 v9, v162
	v_add_f32_e32 v114, v115, v114
	v_mov_b32_e32 v115, v161
	v_mov_b32_e32 v130, v129
	v_add_f32_e32 v35, v56, v35
	v_fmac_f32_e32 v9, 0xbe8c1d8e, v71
	v_mul_f32_e32 v163, 0xbf06c442, v72
	v_add_f32_e32 v14, v15, v14
	v_fma_f32 v15, v71, s5, -v162
	v_fmac_f32_e32 v115, 0x3eb8f4ab, v37
	v_mul_f32_e32 v162, 0xbf59a7d5, v58
	v_fma_f32 v123, v69, s14, -v123
	v_fmac_f32_e32 v130, 0xbf1a4643, v20
	v_add_f32_e32 v35, v50, v35
	v_add_f32_e32 v9, v9, v8
	v_fma_f32 v8, v18, s15, -v163
	v_fmac_f32_e32 v163, 0xbf59a7d5, v18
	v_add_f32_e32 v114, v115, v114
	v_mov_b32_e32 v115, v162
	v_add_f32_e32 v123, v5, v123
	v_fma_f32 v124, v62, s4, -v124
	v_add_f32_e32 v110, v130, v110
	v_mul_f32_e32 v130, 0xbe3c28d5, v75
	v_add_f32_e32 v34, v34, v35
	v_add_f32_e32 v35, v4, v66
	v_mul_f32_e32 v164, 0x3f65296c, v73
	v_add_f32_e32 v15, v15, v14
	v_add_f32_e32 v14, v4, v163
	v_fmac_f32_e32 v115, 0x3f06c442, v24
	v_mul_f32_e32 v163, 0x3dbcf732, v61
	v_add_f32_e32 v123, v124, v123
	v_fma_f32 v124, v55, s5, -v131
	v_mov_b32_e32 v131, v130
	v_add_f32_e32 v35, v67, v35
	v_fma_f32 v10, v19, s2, -v164
	v_fmac_f32_e32 v164, 0x3ee437d1, v19
	v_add_f32_e32 v114, v115, v114
	v_mov_b32_e32 v115, v163
	v_fmac_f32_e32 v131, 0xbf7ba420, v21
	v_add_f32_e32 v35, v39, v35
	v_add_f32_e32 v8, v4, v8
	v_mul_f32_e32 v165, 0xbf7ee86f, v74
	v_add_f32_e32 v14, v164, v14
	v_fmac_f32_e32 v115, 0xbf7ee86f, v25
	v_mul_f32_e32 v164, 0x3f3d2fb0, v63
	v_add_f32_e32 v110, v131, v110
	v_mul_f32_e32 v131, 0x3f06c442, v76
	v_add_f32_e32 v35, v52, v35
	v_add_f32_e32 v8, v10, v8
	v_fma_f32 v10, v20, s14, -v165
	v_fmac_f32_e32 v165, 0x3dbcf732, v20
	v_add_f32_e32 v114, v115, v114
	v_mov_b32_e32 v115, v164
	v_add_f32_e32 v123, v124, v123
	v_fma_f32 v124, v58, s13, -v132
	v_mov_b32_e32 v132, v131
	v_add_f32_e32 v35, v41, v35
	v_mul_f32_e32 v166, 0x3f4c4adb, v75
	v_add_f32_e32 v14, v165, v14
	v_fmac_f32_e32 v115, 0x3f2c7751, v26
	v_mul_f32_e32 v165, 0xbf7ba420, v70
	v_fmac_f32_e32 v132, 0xbf59a7d5, v22
	v_add_f32_e32 v31, v31, v35
	v_add_f32_e32 v8, v10, v8
	v_fma_f32 v10, v21, s3, -v166
	v_fmac_f32_e32 v166, 0xbf1a4643, v21
	v_add_f32_e32 v114, v115, v114
	v_mov_b32_e32 v115, v165
	v_add_f32_e32 v110, v132, v110
	v_mul_f32_e32 v132, 0x3f763a35, v77
	v_add_f32_e32 v31, v32, v31
	v_mul_f32_e32 v167, 0xbeb8f4ab, v76
	v_add_f32_e32 v14, v166, v14
	v_fmac_f32_e32 v115, 0x3e3c28d5, v16
	v_mul_f32_e32 v166, 0x3ee437d1, v71
	v_add_f32_e32 v123, v124, v123
	v_fma_f32 v124, v61, s2, -v133
	v_mov_b32_e32 v133, v132
	v_add_f32_e32 v31, v48, v31
	v_add_f32_e32 v8, v10, v8
	v_fma_f32 v10, v22, s13, -v167
	v_mul_f32_e32 v168, 0xbe3c28d5, v77
	v_fmac_f32_e32 v167, 0x3f6eb680, v22
	v_add_f32_e32 v114, v115, v114
	v_mov_b32_e32 v115, v166
	v_fmac_f32_e32 v133, 0xbe8c1d8e, v23
	v_add_f32_e32 v31, v49, v31
	v_add_f32_e32 v8, v10, v8
	v_fma_f32 v10, v23, s4, -v168
	v_mul_f32_e32 v169, 0x3f2c7751, v79
	v_add_f32_e32 v14, v167, v14
	v_fmac_f32_e32 v168, 0xbf7ba420, v23
	v_fmac_f32_e32 v115, 0xbf65296c, v17
	v_mul_f32_e32 v167, 0xbf4c4adb, v72
	v_add_f32_e32 v110, v133, v110
	v_mul_f32_e32 v133, 0x3f65296c, v79
	v_add_f32_e32 v31, v33, v31
	v_add_f32_e32 v8, v10, v8
	v_fma_f32 v10, v27, s12, -v169
	v_add_f32_e32 v14, v168, v14
	v_fmac_f32_e32 v169, 0x3f3d2fb0, v27
	v_add_f32_e32 v115, v115, v114
	v_mov_b32_e32 v114, v167
	v_mul_f32_e32 v168, 0x3f763a35, v73
	v_add_f32_e32 v123, v124, v123
	v_fma_f32 v124, v63, s15, -v134
	v_mov_b32_e32 v134, v133
	v_add_f32_e32 v30, v30, v31
	v_mul_f32_e32 v170, 0xbf763a35, v107
	v_add_f32_e32 v14, v169, v14
	v_fmac_f32_e32 v114, 0xbf1a4643, v18
	v_mov_b32_e32 v169, v168
	v_fmac_f32_e32 v134, 0x3ee437d1, v27
	v_add_f32_e32 v29, v29, v30
	v_add_f32_e32 v8, v10, v8
	v_fma_f32 v10, v28, s5, -v170
	v_mul_f32_e32 v12, 0xbe3c28d5, v64
	v_add_f32_e32 v114, v4, v114
	v_fmac_f32_e32 v169, 0xbe8c1d8e, v19
	v_add_f32_e32 v110, v134, v110
	v_mul_f32_e32 v134, 0x3eb8f4ab, v107
	v_add_f32_e32 v29, v42, v29
	v_add_f32_e32 v8, v10, v8
	v_mov_b32_e32 v10, v12
	v_mul_f32_e32 v13, 0x3eb8f4ab, v36
	v_fmac_f32_e32 v170, 0xbe8c1d8e, v28
	v_add_f32_e32 v114, v169, v114
	v_mul_f32_e32 v169, 0xbeb8f4ab, v74
	v_add_f32_e32 v123, v124, v123
	v_fma_f32 v124, v70, s3, -v135
	v_mov_b32_e32 v135, v134
	v_add_f32_e32 v29, v38, v29
	v_fmac_f32_e32 v10, 0xbf7ba420, v69
	v_mov_b32_e32 v11, v13
	v_fma_f32 v12, v69, s4, -v12
	v_add_f32_e32 v14, v170, v14
	v_mov_b32_e32 v170, v169
	v_fma_f32 v121, v69, s5, -v121
	v_fmac_f32_e32 v135, 0x3f6eb680, v28
	v_mul_f32_e32 v69, 0x3f6eb680, v69
	v_add_f32_e32 v29, v46, v29
	v_fmac_f32_e32 v159, 0xbf4c4adb, v64
	v_add_f32_e32 v10, v5, v10
	v_fmac_f32_e32 v11, 0x3f6eb680, v62
	v_mul_f32_e32 v171, 0xbf06c442, v37
	v_fmac_f32_e32 v170, 0x3f6eb680, v20
	v_add_f32_e32 v123, v124, v123
	v_fma_f32 v124, v71, s12, -v136
	v_add_f32_e32 v110, v135, v110
	v_mov_b32_e32 v135, v69
	v_mul_f32_e32 v136, 0x3f3d2fb0, v62
	v_add_f32_e32 v33, v65, v29
	v_add_f32_e32 v29, v5, v159
	v_fmac_f32_e32 v160, 0x3f763a35, v36
	v_add_f32_e32 v10, v11, v10
	v_mov_b32_e32 v11, v171
	v_add_f32_e32 v12, v5, v12
	v_fma_f32 v13, v62, s13, -v13
	v_add_f32_e32 v114, v170, v114
	v_mul_f32_e32 v170, 0xbf06c442, v75
	v_add_f32_e32 v121, v5, v121
	v_fma_f32 v122, v62, s15, -v122
	v_fmac_f32_e32 v135, 0x3eb8f4ab, v64
	v_mov_b32_e32 v62, v136
	v_add_f32_e32 v29, v160, v29
	v_fmac_f32_e32 v161, 0xbeb8f4ab, v37
	v_fmac_f32_e32 v11, 0xbf59a7d5, v55
	v_mul_f32_e32 v172, 0x3f2c7751, v24
	v_add_f32_e32 v12, v13, v12
	v_fma_f32 v13, v55, s15, -v171
	v_mov_b32_e32 v171, v170
	v_add_f32_e32 v121, v122, v121
	v_fma_f32 v122, v55, s12, -v145
	v_add_f32_e32 v135, v5, v135
	v_fmac_f32_e32 v62, 0x3f2c7751, v36
	v_mul_f32_e32 v55, 0x3ee437d1, v55
	v_add_f32_e32 v29, v161, v29
	v_fmac_f32_e32 v162, 0xbf06c442, v24
	v_add_f32_e32 v10, v11, v10
	v_mov_b32_e32 v11, v172
	v_fmac_f32_e32 v171, 0xbf59a7d5, v21
	v_add_f32_e32 v62, v62, v135
	v_mov_b32_e32 v135, v55
	v_add_f32_e32 v29, v162, v29
	v_fmac_f32_e32 v163, 0x3f7ee86f, v25
	v_fmac_f32_e32 v11, 0x3f3d2fb0, v58
	v_add_f32_e32 v12, v13, v12
	v_fma_f32 v13, v58, s12, -v172
	v_add_f32_e32 v114, v171, v114
	v_mul_f32_e32 v171, 0x3f7ee86f, v76
	v_add_f32_e32 v121, v122, v121
	v_fma_f32 v122, v58, s2, -v146
	v_fmac_f32_e32 v135, 0x3f65296c, v37
	v_mul_f32_e32 v58, 0x3dbcf732, v58
	v_add_f32_e32 v29, v163, v29
	v_fmac_f32_e32 v164, 0xbf2c7751, v26
	v_mul_f32_e32 v173, 0xbf4c4adb, v25
	v_mov_b32_e32 v172, v171
	v_add_f32_e32 v62, v135, v62
	v_mov_b32_e32 v135, v58
	v_add_f32_e32 v29, v164, v29
	v_fmac_f32_e32 v165, 0xbe3c28d5, v16
	v_add_f32_e32 v10, v11, v10
	v_mov_b32_e32 v11, v173
	v_fmac_f32_e32 v172, 0x3dbcf732, v22
	v_fmac_f32_e32 v135, 0x3f7ee86f, v24
	v_add_f32_e32 v29, v165, v29
	v_fmac_f32_e32 v166, 0x3f65296c, v17
	v_fmac_f32_e32 v11, 0xbf1a4643, v61
	v_mul_f32_e32 v174, 0x3f65296c, v26
	v_add_f32_e32 v114, v172, v114
	v_mul_f32_e32 v172, 0xbf2c7751, v77
	v_add_f32_e32 v62, v135, v62
	v_mul_f32_e32 v135, 0xbe8c1d8e, v61
	v_add_f32_e32 v30, v166, v29
	v_fma_f32 v29, v18, s3, -v167
	v_add_f32_e32 v10, v11, v10
	v_mov_b32_e32 v11, v174
	v_add_f32_e32 v12, v13, v12
	v_fma_f32 v13, v61, s3, -v173
	v_mov_b32_e32 v173, v172
	v_add_f32_e32 v121, v122, v121
	v_fma_f32 v122, v61, s4, -v147
	;; [unrolled: 3-line block ×3, first 2 shown]
	v_fmac_f32_e32 v11, 0x3ee437d1, v63
	v_mul_f32_e32 v175, 0xbf763a35, v16
	v_add_f32_e32 v12, v13, v12
	v_fma_f32 v13, v63, s2, -v174
	v_fmac_f32_e32 v173, 0x3f3d2fb0, v23
	v_add_f32_e32 v121, v122, v121
	v_fma_f32 v122, v63, s14, -v148
	v_fmac_f32_e32 v61, 0x3f763a35, v25
	v_mul_f32_e32 v63, 0xbf1a4643, v63
	v_add_f32_e32 v29, v31, v29
	v_fma_f32 v31, v20, s13, -v169
	v_add_f32_e32 v10, v11, v10
	v_mov_b32_e32 v11, v175
	v_add_f32_e32 v114, v173, v114
	v_mul_f32_e32 v173, 0xbe3c28d5, v79
	v_add_f32_e32 v61, v61, v62
	v_mov_b32_e32 v62, v63
	v_add_f32_e32 v29, v31, v29
	v_fma_f32 v31, v21, s15, -v170
	v_fmac_f32_e32 v11, 0xbe8c1d8e, v70
	v_mul_f32_e32 v176, 0x3f7ee86f, v17
	v_add_f32_e32 v12, v13, v12
	v_fma_f32 v13, v70, s5, -v175
	v_mov_b32_e32 v174, v173
	v_add_f32_e32 v121, v122, v121
	v_fma_f32 v122, v70, s13, -v149
	v_fmac_f32_e32 v62, 0x3f4c4adb, v26
	v_mul_f32_e32 v70, 0xbf59a7d5, v70
	v_add_f32_e32 v29, v31, v29
	v_fma_f32 v31, v22, s14, -v171
	v_add_f32_e32 v10, v11, v10
	v_mov_b32_e32 v11, v176
	v_fmac_f32_e32 v174, 0xbf7ba420, v27
	v_add_f32_e32 v61, v62, v61
	v_mov_b32_e32 v62, v70
	v_add_f32_e32 v29, v31, v29
	v_fma_f32 v31, v23, s12, -v172
	v_fmac_f32_e32 v11, 0x3dbcf732, v71
	v_add_f32_e32 v12, v13, v12
	v_fma_f32 v13, v71, s14, -v176
	v_add_f32_e32 v114, v174, v114
	v_mul_f32_e32 v174, 0x3f65296c, v107
	v_add_f32_e32 v121, v122, v121
	v_fma_f32 v122, v71, s3, -v150
	v_fmac_f32_e32 v62, 0x3f06c442, v16
	v_mul_f32_e32 v71, 0xbf7ba420, v71
	v_add_f32_e32 v29, v31, v29
	v_fma_f32 v31, v27, s4, -v173
	v_add_f32_e32 v61, v62, v61
	v_mov_b32_e32 v62, v71
	v_add_f32_e32 v29, v31, v29
	v_fma_f32 v31, v28, s2, -v174
	v_fmac_f32_e32 v78, 0xbf2c7751, v64
	v_mul_f32_e32 v177, 0xbe3c28d5, v72
	v_fmac_f32_e32 v62, 0x3e3c28d5, v17
	v_mul_f32_e32 v72, 0xbeb8f4ab, v72
	v_add_f32_e32 v29, v31, v29
	v_add_f32_e32 v31, v5, v78
	v_fmac_f32_e32 v112, 0xbf7ee86f, v36
	v_add_f32_e32 v11, v11, v10
	v_fma_f32 v10, v18, s4, -v177
	v_mul_f32_e32 v178, 0x3eb8f4ab, v73
	v_fmac_f32_e32 v137, 0x3dbcf732, v18
	v_add_f32_e32 v62, v62, v61
	v_mov_b32_e32 v61, v72
	v_mul_f32_e32 v73, 0xbf2c7751, v73
	v_add_f32_e32 v31, v112, v31
	v_fmac_f32_e32 v113, 0xbf4c4adb, v37
	v_add_f32_e32 v10, v4, v10
	v_fma_f32 v179, v19, s13, -v178
	v_add_f32_e32 v124, v124, v123
	v_add_f32_e32 v123, v4, v137
	v_fmac_f32_e32 v61, 0x3f6eb680, v18
	v_mov_b32_e32 v137, v73
	v_add_f32_e32 v31, v113, v31
	v_fmac_f32_e32 v116, 0xbe3c28d5, v24
	v_add_f32_e32 v10, v179, v10
	v_mul_f32_e32 v179, 0xbf06c442, v74
	v_add_f32_e32 v61, v4, v61
	v_fmac_f32_e32 v137, 0x3f3d2fb0, v19
	v_mul_f32_e32 v74, 0xbf65296c, v74
	v_add_f32_e32 v31, v116, v31
	v_fmac_f32_e32 v117, 0x3f06c442, v25
	v_fma_f32 v180, v20, s15, -v179
	v_add_f32_e32 v61, v137, v61
	v_mov_b32_e32 v137, v74
	v_add_f32_e32 v31, v117, v31
	v_fmac_f32_e32 v119, 0x3f763a35, v26
	v_add_f32_e32 v10, v180, v10
	v_mul_f32_e32 v180, 0x3f2c7751, v75
	v_fmac_f32_e32 v137, 0x3ee437d1, v20
	v_mul_f32_e32 v75, 0xbf7ee86f, v75
	v_add_f32_e32 v31, v119, v31
	v_fmac_f32_e32 v125, 0x3f65296c, v16
	v_fma_f32 v181, v21, s12, -v180
	v_add_f32_e32 v61, v137, v61
	v_mov_b32_e32 v137, v75
	v_add_f32_e32 v31, v125, v31
	v_fmac_f32_e32 v126, 0x3eb8f4ab, v17
	v_add_f32_e32 v10, v181, v10
	v_mul_f32_e32 v181, 0xbf4c4adb, v76
	v_fmac_f32_e32 v177, 0xbf7ba420, v18
	v_fmac_f32_e32 v151, 0xbe8c1d8e, v18
	v_fmac_f32_e32 v137, 0x3dbcf732, v21
	v_mul_f32_e32 v76, 0xbf763a35, v76
	v_add_f32_e32 v32, v126, v31
	v_fma_f32 v31, v18, s12, -v127
	v_fmac_f32_e32 v70, 0xbf06c442, v16
	v_fma_f32 v16, v18, s13, -v72
	v_fma_f32 v182, v22, s3, -v181
	v_add_f32_e32 v13, v13, v12
	v_add_f32_e32 v12, v4, v177
	v_fmac_f32_e32 v178, 0x3f6eb680, v19
	v_add_f32_e32 v122, v122, v121
	v_add_f32_e32 v121, v4, v151
	v_fmac_f32_e32 v152, 0xbf59a7d5, v19
	v_add_f32_e32 v61, v137, v61
	v_mov_b32_e32 v137, v76
	v_add_f32_e32 v31, v4, v31
	v_add_f32_e32 v4, v4, v16
	v_fma_f32 v16, v19, s12, -v73
	v_add_f32_e32 v10, v182, v10
	v_mul_f32_e32 v182, 0x3f65296c, v77
	v_add_f32_e32 v12, v178, v12
	v_fmac_f32_e32 v179, 0xbf59a7d5, v20
	v_add_f32_e32 v121, v152, v121
	v_fmac_f32_e32 v153, 0x3f3d2fb0, v20
	v_fmac_f32_e32 v138, 0xbf7ba420, v19
	;; [unrolled: 1-line block ×3, first 2 shown]
	v_mul_f32_e32 v77, 0xbf4c4adb, v77
	v_add_f32_e32 v4, v16, v4
	v_fma_f32 v16, v20, s2, -v74
	v_fma_f32 v183, v23, s2, -v182
	v_add_f32_e32 v12, v179, v12
	v_fmac_f32_e32 v180, 0x3f3d2fb0, v21
	v_add_f32_e32 v121, v153, v121
	v_fmac_f32_e32 v154, 0x3ee437d1, v21
	;; [unrolled: 2-line block ×3, first 2 shown]
	v_add_f32_e32 v61, v137, v61
	v_mov_b32_e32 v137, v77
	v_fmac_f32_e32 v69, 0xbeb8f4ab, v64
	v_add_f32_e32 v4, v16, v4
	v_fma_f32 v16, v21, s14, -v75
	v_add_f32_e32 v10, v183, v10
	v_mul_f32_e32 v183, 0xbf763a35, v79
	v_add_f32_e32 v12, v180, v12
	v_fmac_f32_e32 v181, 0xbf1a4643, v22
	v_add_f32_e32 v121, v154, v121
	v_fmac_f32_e32 v155, 0xbf7ba420, v22
	;; [unrolled: 2-line block ×3, first 2 shown]
	v_fmac_f32_e32 v137, 0xbf1a4643, v23
	v_mul_f32_e32 v79, 0xbf06c442, v79
	v_fma_f32 v35, v19, s14, -v128
	v_add_f32_e32 v5, v5, v69
	v_fmac_f32_e32 v136, 0xbf2c7751, v36
	v_add_f32_e32 v4, v16, v4
	v_fma_f32 v16, v22, s5, -v76
	v_fma_f32 v184, v27, s5, -v183
	v_add_f32_e32 v12, v181, v12
	v_fmac_f32_e32 v182, 0x3ee437d1, v23
	v_add_f32_e32 v121, v155, v121
	v_fmac_f32_e32 v156, 0x3dbcf732, v23
	;; [unrolled: 2-line block ×3, first 2 shown]
	v_add_f32_e32 v61, v137, v61
	v_mov_b32_e32 v137, v79
	v_add_f32_e32 v34, v40, v34
	v_add_f32_e32 v31, v35, v31
	v_fma_f32 v35, v20, s3, -v129
	v_add_f32_e32 v5, v136, v5
	v_fmac_f32_e32 v55, 0xbf65296c, v37
	v_add_f32_e32 v4, v16, v4
	v_fma_f32 v16, v23, s3, -v77
	v_add_f32_e32 v10, v184, v10
	v_mul_f32_e32 v184, 0x3f7ee86f, v107
	v_add_f32_e32 v12, v182, v12
	v_fmac_f32_e32 v183, 0xbe8c1d8e, v27
	v_mov_b32_e32 v175, v174
	v_add_f32_e32 v121, v156, v121
	v_fmac_f32_e32 v157, 0x3f6eb680, v27
	v_add_f32_e32 v123, v141, v123
	v_fmac_f32_e32 v142, 0xbf59a7d5, v23
	v_fmac_f32_e32 v137, 0xbf59a7d5, v27
	v_mul_f32_e32 v107, 0xbe3c28d5, v107
	v_add_f32_e32 v34, v43, v34
	v_add_f32_e32 v31, v35, v31
	v_fma_f32 v35, v21, s4, -v130
	v_add_f32_e32 v5, v55, v5
	v_fmac_f32_e32 v58, 0xbf7ee86f, v24
	v_add_f32_e32 v4, v16, v4
	v_fma_f32 v16, v27, s15, -v79
	v_fma_f32 v185, v28, s14, -v184
	v_add_f32_e32 v12, v183, v12
	v_fmac_f32_e32 v184, 0x3dbcf732, v28
	v_fmac_f32_e32 v175, 0x3ee437d1, v28
	v_add_f32_e32 v121, v157, v121
	v_fmac_f32_e32 v158, 0xbf1a4643, v28
	v_add_f32_e32 v123, v142, v123
	v_fmac_f32_e32 v143, 0xbf1a4643, v27
	v_add_f32_e32 v61, v137, v61
	v_mov_b32_e32 v137, v107
	v_add_f32_e32 v34, v44, v34
	v_add_f32_e32 v31, v35, v31
	v_fma_f32 v35, v22, s15, -v131
	v_add_f32_e32 v5, v58, v5
	v_fmac_f32_e32 v135, 0xbf763a35, v25
	v_add_f32_e32 v4, v16, v4
	v_fma_f32 v16, v28, s4, -v107
	v_add_f32_e32 v12, v184, v12
	v_add_f32_e32 v114, v175, v114
	;; [unrolled: 1-line block ×4, first 2 shown]
	v_fmac_f32_e32 v144, 0x3f3d2fb0, v28
	v_fmac_f32_e32 v137, 0xbf7ba420, v28
	v_add_f32_e32 v34, v47, v34
	v_add_f32_e32 v31, v35, v31
	v_fma_f32 v35, v23, s5, -v132
	v_add_f32_e32 v5, v135, v5
	v_fmac_f32_e32 v63, 0xbf4c4adb, v26
	v_add_f32_e32 v4, v16, v4
	v_add_u32_e32 v16, 0x800, v120
	v_add_f32_e32 v10, v185, v10
	v_add_f32_e32 v123, v144, v123
	;; [unrolled: 1-line block ×4, first 2 shown]
	v_fma_f32 v35, v27, s2, -v133
	v_add_f32_e32 v5, v63, v5
	ds_write_b64 v118, v[33:34]
	ds_write2_b64 v120, v[61:62], v[110:111] offset0:52 offset1:104
	ds_write2_b64 v120, v[108:109], v[123:124] offset0:156 offset1:208
	;; [unrolled: 1-line block ×4, first 2 shown]
	v_add_u32_e32 v12, 0xc00, v120
	v_add_f32_e32 v31, v35, v31
	v_fma_f32 v35, v28, s13, -v134
	v_add_f32_e32 v5, v70, v5
	v_fmac_f32_e32 v71, 0xbe3c28d5, v17
	ds_write2_b64 v12, v[10:11], v[8:9] offset0:84 offset1:136
	v_add_u32_e32 v8, 0x1000, v120
	v_add_f32_e32 v31, v35, v31
	v_add_f32_e32 v5, v71, v5
	ds_write2_b64 v8, v[29:30], v[6:7] offset0:60 offset1:112
	ds_write2_b64 v8, v[2:3], v[0:1] offset0:164 offset1:216
	v_add_u32_e32 v0, 0x1800, v120
	ds_write2_b64 v0, v[31:32], v[4:5] offset0:12 offset1:64
.LBB0_17:
	s_or_b64 exec, exec, s[0:1]
	s_waitcnt lgkmcnt(0)
	s_barrier
	ds_read2_b64 v[0:3], v118 offset1:68
	v_mad_u64_u32 v[4:5], s[0:1], s10, v80, 0
	s_mov_b32 s0, 0x1288b013
	s_mov_b32 s1, 0x3f5288b0
	s_waitcnt lgkmcnt(0)
	v_mul_f32_e32 v6, v106, v1
	v_fmac_f32_e32 v6, v105, v0
	v_cvt_f64_f32_e32 v[6:7], v6
	v_mul_f32_e32 v0, v106, v0
	v_fma_f32 v0, v105, v1, -v0
	v_cvt_f64_f32_e32 v[0:1], v0
	v_mul_f64 v[6:7], v[6:7], s[0:1]
	v_mad_u64_u32 v[8:9], s[2:3], s8, v223, 0
	v_mul_f64 v[0:1], v[0:1], s[0:1]
	v_mad_u64_u32 v[10:11], s[2:3], s11, v80, v[5:6]
	v_mov_b32_e32 v5, v9
	v_mad_u64_u32 v[11:12], s[2:3], s9, v223, v[5:6]
	v_mov_b32_e32 v5, v10
	v_cvt_f32_f64_e32 v6, v[6:7]
	v_cvt_f32_f64_e32 v7, v[0:1]
	v_lshlrev_b64 v[0:1], 3, v[4:5]
	v_mul_f32_e32 v4, v102, v3
	v_fmac_f32_e32 v4, v101, v2
	v_cvt_f64_f32_e32 v[4:5], v4
	v_mov_b32_e32 v9, v11
	v_mov_b32_e32 v10, s7
	v_add_co_u32_e32 v11, vcc, s6, v0
	v_mul_f32_e32 v2, v102, v2
	v_addc_co_u32_e32 v10, vcc, v10, v1, vcc
	v_mul_f64 v[0:1], v[4:5], s[0:1]
	v_fma_f32 v2, v101, v3, -v2
	v_cvt_f64_f32_e32 v[2:3], v2
	v_lshlrev_b64 v[4:5], 3, v[8:9]
	s_mul_i32 s2, s9, 0x220
	v_add_co_u32_e32 v4, vcc, v11, v4
	v_mul_f64 v[8:9], v[2:3], s[0:1]
	v_addc_co_u32_e32 v5, vcc, v10, v5, vcc
	global_store_dwordx2 v[4:5], v[6:7], off
	v_cvt_f32_f64_e32 v6, v[0:1]
	v_add_u32_e32 v0, 0x400, v118
	ds_read2_b64 v[0:3], v0 offset0:8 offset1:144
	ds_read_b64 v[10:11], v120 offset:1632
	v_cvt_f32_f64_e32 v7, v[8:9]
	s_mul_hi_u32 s3, s8, 0x220
	s_add_i32 s2, s3, s2
	s_waitcnt lgkmcnt(1)
	v_mul_f32_e32 v8, v94, v1
	v_fmac_f32_e32 v8, v93, v0
	v_mul_f32_e32 v0, v94, v0
	v_fma_f32 v0, v93, v1, -v0
	v_cvt_f64_f32_e32 v[8:9], v8
	v_cvt_f64_f32_e32 v[0:1], v0
	s_mul_i32 s3, s8, 0x220
	v_mov_b32_e32 v12, s2
	v_mul_f64 v[8:9], v[8:9], s[0:1]
	v_mul_f64 v[0:1], v[0:1], s[0:1]
	v_add_co_u32_e32 v4, vcc, s3, v4
	v_addc_co_u32_e32 v5, vcc, v5, v12, vcc
	global_store_dwordx2 v[4:5], v[6:7], off
	s_waitcnt lgkmcnt(0)
	v_mul_f32_e32 v6, v90, v11
	v_fmac_f32_e32 v6, v89, v10
	v_cvt_f64_f32_e32 v[6:7], v6
	v_cvt_f32_f64_e32 v8, v[8:9]
	v_cvt_f32_f64_e32 v9, v[0:1]
	v_add_co_u32_e32 v4, vcc, s3, v4
	v_mul_f64 v[0:1], v[6:7], s[0:1]
	v_mul_f32_e32 v6, v90, v10
	v_fma_f32 v6, v89, v11, -v6
	v_cvt_f64_f32_e32 v[6:7], v6
	v_addc_co_u32_e32 v5, vcc, v5, v12, vcc
	global_store_dwordx2 v[4:5], v[8:9], off
	v_mul_f64 v[6:7], v[6:7], s[0:1]
	v_cvt_f32_f64_e32 v8, v[0:1]
	v_mul_f32_e32 v0, v104, v3
	v_fmac_f32_e32 v0, v103, v2
	v_mul_f32_e32 v2, v104, v2
	v_cvt_f64_f32_e32 v[0:1], v0
	v_fma_f32 v2, v103, v3, -v2
	v_cvt_f64_f32_e32 v[2:3], v2
	v_cvt_f32_f64_e32 v9, v[6:7]
	v_mul_f64 v[6:7], v[0:1], s[0:1]
	v_add_u32_e32 v0, 0x800, v118
	v_mul_f64 v[10:11], v[2:3], s[0:1]
	ds_read2_b64 v[0:3], v0 offset0:84 offset1:152
	v_add_co_u32_e32 v4, vcc, s3, v4
	v_addc_co_u32_e32 v5, vcc, v5, v12, vcc
	global_store_dwordx2 v[4:5], v[8:9], off
	s_waitcnt lgkmcnt(0)
	v_mul_f32_e32 v8, v100, v1
	v_fmac_f32_e32 v8, v99, v0
	v_mul_f32_e32 v0, v100, v0
	v_fma_f32 v0, v99, v1, -v0
	v_cvt_f64_f32_e32 v[8:9], v8
	v_cvt_f64_f32_e32 v[0:1], v0
	v_cvt_f32_f64_e32 v6, v[6:7]
	v_cvt_f32_f64_e32 v7, v[10:11]
	v_mov_b32_e32 v10, s2
	v_mul_f64 v[8:9], v[8:9], s[0:1]
	v_add_co_u32_e32 v4, vcc, s3, v4
	v_mul_f64 v[0:1], v[0:1], s[0:1]
	v_addc_co_u32_e32 v5, vcc, v5, v10, vcc
	global_store_dwordx2 v[4:5], v[6:7], off
	v_mul_f32_e32 v7, v96, v3
	v_fmac_f32_e32 v7, v95, v2
	v_mul_f32_e32 v2, v96, v2
	v_fma_f32 v2, v95, v3, -v2
	v_cvt_f64_f32_e32 v[2:3], v2
	v_cvt_f32_f64_e32 v6, v[8:9]
	v_cvt_f64_f32_e32 v[8:9], v7
	v_cvt_f32_f64_e32 v7, v[0:1]
	v_add_u32_e32 v0, 0xc00, v118
	v_mul_f64 v[10:11], v[2:3], s[0:1]
	ds_read2_b64 v[0:3], v0 offset0:92 offset1:160
	v_add_co_u32_e32 v4, vcc, s3, v4
	v_addc_co_u32_e32 v5, vcc, v5, v12, vcc
	global_store_dwordx2 v[4:5], v[6:7], off
	s_waitcnt lgkmcnt(0)
	v_mul_f32_e32 v6, v88, v1
	v_fmac_f32_e32 v6, v87, v0
	v_cvt_f64_f32_e32 v[6:7], v6
	v_mul_f32_e32 v0, v88, v0
	v_fma_f32 v0, v87, v1, -v0
	v_mul_f64 v[8:9], v[8:9], s[0:1]
	v_mul_f64 v[6:7], v[6:7], s[0:1]
	v_cvt_f64_f32_e32 v[0:1], v0
	v_add_co_u32_e32 v4, vcc, s3, v4
	v_mul_f64 v[0:1], v[0:1], s[0:1]
	v_cvt_f32_f64_e32 v8, v[8:9]
	v_cvt_f32_f64_e32 v6, v[6:7]
	v_mul_f32_e32 v7, v98, v3
	v_fmac_f32_e32 v7, v97, v2
	v_mul_f32_e32 v2, v98, v2
	v_cvt_f32_f64_e32 v9, v[10:11]
	v_fma_f32 v2, v97, v3, -v2
	v_cvt_f64_f32_e32 v[2:3], v2
	v_mov_b32_e32 v10, s2
	v_addc_co_u32_e32 v5, vcc, v5, v10, vcc
	global_store_dwordx2 v[4:5], v[8:9], off
	v_cvt_f64_f32_e32 v[8:9], v7
	v_cvt_f32_f64_e32 v7, v[0:1]
	v_add_u32_e32 v0, 0x1000, v118
	v_mul_f64 v[10:11], v[2:3], s[0:1]
	ds_read2_b64 v[0:3], v0 offset0:100 offset1:168
	v_add_co_u32_e32 v4, vcc, s3, v4
	v_addc_co_u32_e32 v5, vcc, v5, v12, vcc
	global_store_dwordx2 v[4:5], v[6:7], off
	s_waitcnt lgkmcnt(0)
	v_mul_f32_e32 v6, v86, v1
	v_fmac_f32_e32 v6, v85, v0
	v_cvt_f64_f32_e32 v[6:7], v6
	v_mul_f64 v[8:9], v[8:9], s[0:1]
	v_mul_f32_e32 v0, v86, v0
	v_fma_f32 v0, v85, v1, -v0
	v_mul_f64 v[6:7], v[6:7], s[0:1]
	v_cvt_f64_f32_e32 v[0:1], v0
	v_add_co_u32_e32 v4, vcc, s3, v4
	v_cvt_f32_f64_e32 v8, v[8:9]
	v_cvt_f32_f64_e32 v9, v[10:11]
	v_mul_f64 v[0:1], v[0:1], s[0:1]
	v_mov_b32_e32 v10, s2
	v_cvt_f32_f64_e32 v6, v[6:7]
	v_mul_f32_e32 v7, v92, v3
	v_addc_co_u32_e32 v5, vcc, v5, v10, vcc
	v_fmac_f32_e32 v7, v91, v2
	global_store_dwordx2 v[4:5], v[8:9], off
	v_cvt_f64_f32_e32 v[8:9], v7
	v_mul_f32_e32 v2, v92, v2
	v_fma_f32 v2, v91, v3, -v2
	v_cvt_f64_f32_e32 v[2:3], v2
	v_mul_f64 v[8:9], v[8:9], s[0:1]
	v_cvt_f32_f64_e32 v7, v[0:1]
	v_mov_b32_e32 v0, s2
	v_add_co_u32_e32 v4, vcc, s3, v4
	v_addc_co_u32_e32 v5, vcc, v5, v0, vcc
	v_add_u32_e32 v0, 0x1400, v118
	v_mul_f64 v[10:11], v[2:3], s[0:1]
	ds_read2_b64 v[0:3], v0 offset0:108 offset1:176
	global_store_dwordx2 v[4:5], v[6:7], off
	v_cvt_f32_f64_e32 v6, v[8:9]
	v_add_co_u32_e32 v4, vcc, s3, v4
	s_waitcnt lgkmcnt(0)
	v_mul_f32_e32 v8, v82, v1
	v_fmac_f32_e32 v8, v81, v0
	v_mul_f32_e32 v0, v82, v0
	v_fma_f32 v0, v81, v1, -v0
	v_cvt_f32_f64_e32 v7, v[10:11]
	v_cvt_f64_f32_e32 v[8:9], v8
	v_cvt_f64_f32_e32 v[0:1], v0
	v_mov_b32_e32 v10, s2
	v_addc_co_u32_e32 v5, vcc, v5, v10, vcc
	global_store_dwordx2 v[4:5], v[6:7], off
	v_mul_f64 v[6:7], v[8:9], s[0:1]
	v_mul_f64 v[0:1], v[0:1], s[0:1]
	v_mul_f32_e32 v8, v84, v3
	v_fmac_f32_e32 v8, v83, v2
	v_mul_f32_e32 v2, v84, v2
	v_fma_f32 v2, v83, v3, -v2
	v_cvt_f64_f32_e32 v[8:9], v8
	v_cvt_f64_f32_e32 v[2:3], v2
	v_cvt_f32_f64_e32 v6, v[6:7]
	v_cvt_f32_f64_e32 v7, v[0:1]
	v_mul_f64 v[0:1], v[8:9], s[0:1]
	v_mul_f64 v[2:3], v[2:3], s[0:1]
	v_mov_b32_e32 v8, s2
	v_add_co_u32_e32 v4, vcc, s3, v4
	v_addc_co_u32_e32 v5, vcc, v5, v8, vcc
	global_store_dwordx2 v[4:5], v[6:7], off
	v_cvt_f32_f64_e32 v0, v[0:1]
	v_cvt_f32_f64_e32 v1, v[2:3]
	v_mov_b32_e32 v3, s2
	v_add_co_u32_e32 v2, vcc, s3, v4
	v_addc_co_u32_e32 v3, vcc, v5, v3, vcc
	global_store_dwordx2 v[2:3], v[0:1], off
.LBB0_18:
	s_endpgm
	.section	.rodata,"a",@progbits
	.p2align	6, 0x0
	.amdhsa_kernel bluestein_single_back_len884_dim1_sp_op_CI_CI
		.amdhsa_group_segment_fixed_size 21216
		.amdhsa_private_segment_fixed_size 132
		.amdhsa_kernarg_size 104
		.amdhsa_user_sgpr_count 6
		.amdhsa_user_sgpr_private_segment_buffer 1
		.amdhsa_user_sgpr_dispatch_ptr 0
		.amdhsa_user_sgpr_queue_ptr 0
		.amdhsa_user_sgpr_kernarg_segment_ptr 1
		.amdhsa_user_sgpr_dispatch_id 0
		.amdhsa_user_sgpr_flat_scratch_init 0
		.amdhsa_user_sgpr_private_segment_size 0
		.amdhsa_uses_dynamic_stack 0
		.amdhsa_system_sgpr_private_segment_wavefront_offset 1
		.amdhsa_system_sgpr_workgroup_id_x 1
		.amdhsa_system_sgpr_workgroup_id_y 0
		.amdhsa_system_sgpr_workgroup_id_z 0
		.amdhsa_system_sgpr_workgroup_info 0
		.amdhsa_system_vgpr_workitem_id 0
		.amdhsa_next_free_vgpr 256
		.amdhsa_next_free_sgpr 28
		.amdhsa_reserve_vcc 1
		.amdhsa_reserve_flat_scratch 0
		.amdhsa_float_round_mode_32 0
		.amdhsa_float_round_mode_16_64 0
		.amdhsa_float_denorm_mode_32 3
		.amdhsa_float_denorm_mode_16_64 3
		.amdhsa_dx10_clamp 1
		.amdhsa_ieee_mode 1
		.amdhsa_fp16_overflow 0
		.amdhsa_exception_fp_ieee_invalid_op 0
		.amdhsa_exception_fp_denorm_src 0
		.amdhsa_exception_fp_ieee_div_zero 0
		.amdhsa_exception_fp_ieee_overflow 0
		.amdhsa_exception_fp_ieee_underflow 0
		.amdhsa_exception_fp_ieee_inexact 0
		.amdhsa_exception_int_div_zero 0
	.end_amdhsa_kernel
	.text
.Lfunc_end0:
	.size	bluestein_single_back_len884_dim1_sp_op_CI_CI, .Lfunc_end0-bluestein_single_back_len884_dim1_sp_op_CI_CI
                                        ; -- End function
	.section	.AMDGPU.csdata,"",@progbits
; Kernel info:
; codeLenInByte = 22504
; NumSgprs: 32
; NumVgprs: 256
; ScratchSize: 132
; MemoryBound: 0
; FloatMode: 240
; IeeeMode: 1
; LDSByteSize: 21216 bytes/workgroup (compile time only)
; SGPRBlocks: 3
; VGPRBlocks: 63
; NumSGPRsForWavesPerEU: 32
; NumVGPRsForWavesPerEU: 256
; Occupancy: 1
; WaveLimiterHint : 1
; COMPUTE_PGM_RSRC2:SCRATCH_EN: 1
; COMPUTE_PGM_RSRC2:USER_SGPR: 6
; COMPUTE_PGM_RSRC2:TRAP_HANDLER: 0
; COMPUTE_PGM_RSRC2:TGID_X_EN: 1
; COMPUTE_PGM_RSRC2:TGID_Y_EN: 0
; COMPUTE_PGM_RSRC2:TGID_Z_EN: 0
; COMPUTE_PGM_RSRC2:TIDIG_COMP_CNT: 0
	.type	__hip_cuid_41b22cb4b3bbd677,@object ; @__hip_cuid_41b22cb4b3bbd677
	.section	.bss,"aw",@nobits
	.globl	__hip_cuid_41b22cb4b3bbd677
__hip_cuid_41b22cb4b3bbd677:
	.byte	0                               ; 0x0
	.size	__hip_cuid_41b22cb4b3bbd677, 1

	.ident	"AMD clang version 19.0.0git (https://github.com/RadeonOpenCompute/llvm-project roc-6.4.0 25133 c7fe45cf4b819c5991fe208aaa96edf142730f1d)"
	.section	".note.GNU-stack","",@progbits
	.addrsig
	.addrsig_sym __hip_cuid_41b22cb4b3bbd677
	.amdgpu_metadata
---
amdhsa.kernels:
  - .args:
      - .actual_access:  read_only
        .address_space:  global
        .offset:         0
        .size:           8
        .value_kind:     global_buffer
      - .actual_access:  read_only
        .address_space:  global
        .offset:         8
        .size:           8
        .value_kind:     global_buffer
      - .actual_access:  read_only
        .address_space:  global
        .offset:         16
        .size:           8
        .value_kind:     global_buffer
      - .actual_access:  read_only
        .address_space:  global
        .offset:         24
        .size:           8
        .value_kind:     global_buffer
      - .actual_access:  read_only
        .address_space:  global
        .offset:         32
        .size:           8
        .value_kind:     global_buffer
      - .offset:         40
        .size:           8
        .value_kind:     by_value
      - .address_space:  global
        .offset:         48
        .size:           8
        .value_kind:     global_buffer
      - .address_space:  global
        .offset:         56
        .size:           8
        .value_kind:     global_buffer
      - .address_space:  global
        .offset:         64
        .size:           8
        .value_kind:     global_buffer
      - .address_space:  global
        .offset:         72
        .size:           8
        .value_kind:     global_buffer
      - .offset:         80
        .size:           4
        .value_kind:     by_value
      - .address_space:  global
        .offset:         88
        .size:           8
        .value_kind:     global_buffer
      - .address_space:  global
        .offset:         96
        .size:           8
        .value_kind:     global_buffer
    .group_segment_fixed_size: 21216
    .kernarg_segment_align: 8
    .kernarg_segment_size: 104
    .language:       OpenCL C
    .language_version:
      - 2
      - 0
    .max_flat_workgroup_size: 204
    .name:           bluestein_single_back_len884_dim1_sp_op_CI_CI
    .private_segment_fixed_size: 132
    .sgpr_count:     32
    .sgpr_spill_count: 0
    .symbol:         bluestein_single_back_len884_dim1_sp_op_CI_CI.kd
    .uniform_work_group_size: 1
    .uses_dynamic_stack: false
    .vgpr_count:     256
    .vgpr_spill_count: 32
    .wavefront_size: 64
amdhsa.target:   amdgcn-amd-amdhsa--gfx906
amdhsa.version:
  - 1
  - 2
...

	.end_amdgpu_metadata
